;; amdgpu-corpus repo=ROCm/rocFFT kind=compiled arch=gfx1201 opt=O3
	.text
	.amdgcn_target "amdgcn-amd-amdhsa--gfx1201"
	.amdhsa_code_object_version 6
	.protected	bluestein_single_back_len1764_dim1_dp_op_CI_CI ; -- Begin function bluestein_single_back_len1764_dim1_dp_op_CI_CI
	.globl	bluestein_single_back_len1764_dim1_dp_op_CI_CI
	.p2align	8
	.type	bluestein_single_back_len1764_dim1_dp_op_CI_CI,@function
bluestein_single_back_len1764_dim1_dp_op_CI_CI: ; @bluestein_single_back_len1764_dim1_dp_op_CI_CI
; %bb.0:
	s_load_b128 s[16:19], s[0:1], 0x28
	v_mul_u32_u24_e32 v1, 0x209, v0
	s_mov_b32 s2, exec_lo
	v_mov_b32_e32 v6, 0
	s_delay_alu instid0(VALU_DEP_2) | instskip(NEXT) | instid1(VALU_DEP_1)
	v_lshrrev_b32_e32 v1, 16, v1
	v_add_nc_u32_e32 v5, ttmp9, v1
	s_wait_kmcnt 0x0
	s_delay_alu instid0(VALU_DEP_1)
	v_cmpx_gt_u64_e64 s[16:17], v[5:6]
	s_cbranch_execz .LBB0_18
; %bb.1:
	s_clause 0x1
	s_load_b128 s[4:7], s[0:1], 0x18
	s_load_b128 s[8:11], s[0:1], 0x0
	v_mul_lo_u16 v1, 0x7e, v1
	s_movk_i32 s2, 0xd0c0
	s_mov_b32 s3, -1
	s_load_b64 s[0:1], s[0:1], 0x38
	v_mov_b32_e32 v6, v5
	v_sub_nc_u16 v0, v0, v1
	scratch_store_b64 off, v[6:7], off offset:192 ; 8-byte Folded Spill
	v_and_b32_e32 v21, 0xffff, v0
	s_delay_alu instid0(VALU_DEP_1)
	v_lshlrev_b32_e32 v20, 4, v21
	v_and_b32_e32 v19, 1, v21
	s_wait_kmcnt 0x0
	s_load_b128 s[12:15], s[4:5], 0x0
	s_clause 0xb
	global_load_b128 v[40:43], v20, s[8:9] offset:14112
	global_load_b128 v[44:47], v20, s[8:9]
	global_load_b128 v[48:51], v20, s[8:9] offset:2016
	global_load_b128 v[52:55], v20, s[8:9] offset:16128
	;; [unrolled: 1-line block ×10, first 2 shown]
	s_wait_kmcnt 0x0
	v_mad_co_u64_u32 v[1:2], null, s14, v5, 0
	v_mad_co_u64_u32 v[3:4], null, s12, v21, 0
	s_mul_u64 s[4:5], s[12:13], 0x3720
	s_mul_u64 s[2:3], s[12:13], s[2:3]
	s_delay_alu instid0(VALU_DEP_1) | instskip(NEXT) | instid1(VALU_DEP_1)
	v_mad_co_u64_u32 v[5:6], null, s15, v5, v[2:3]
	v_mad_co_u64_u32 v[6:7], null, s13, v21, v[4:5]
	v_mov_b32_e32 v2, v5
	s_delay_alu instid0(VALU_DEP_1) | instskip(NEXT) | instid1(VALU_DEP_3)
	v_lshlrev_b64_e32 v[1:2], 4, v[1:2]
	v_mov_b32_e32 v4, v6
	s_delay_alu instid0(VALU_DEP_2) | instskip(NEXT) | instid1(VALU_DEP_2)
	v_add_co_u32 v1, vcc_lo, s18, v1
	v_lshlrev_b64_e32 v[3:4], 4, v[3:4]
	s_delay_alu instid0(VALU_DEP_4) | instskip(NEXT) | instid1(VALU_DEP_2)
	v_add_co_ci_u32_e32 v2, vcc_lo, s19, v2, vcc_lo
	v_add_co_u32 v1, vcc_lo, v1, v3
	s_wait_alu 0xfffd
	s_delay_alu instid0(VALU_DEP_2) | instskip(NEXT) | instid1(VALU_DEP_2)
	v_add_co_ci_u32_e32 v2, vcc_lo, v2, v4, vcc_lo
	v_add_co_u32 v5, vcc_lo, v1, s4
	s_wait_alu 0xfffd
	s_delay_alu instid0(VALU_DEP_2) | instskip(NEXT) | instid1(VALU_DEP_2)
	v_add_co_ci_u32_e32 v6, vcc_lo, s5, v2, vcc_lo
	v_add_co_u32 v9, vcc_lo, v5, s2
	s_wait_alu 0xfffd
	s_delay_alu instid0(VALU_DEP_2)
	v_add_co_ci_u32_e32 v10, vcc_lo, s3, v6, vcc_lo
	s_clause 0x1
	global_load_b128 v[1:4], v[1:2], off
	global_load_b128 v[5:8], v[5:6], off
	v_add_co_u32 v13, vcc_lo, v9, s4
	s_wait_alu 0xfffd
	v_add_co_ci_u32_e32 v14, vcc_lo, s5, v10, vcc_lo
	s_delay_alu instid0(VALU_DEP_2) | instskip(SKIP_1) | instid1(VALU_DEP_2)
	v_add_co_u32 v17, vcc_lo, v13, s2
	s_wait_alu 0xfffd
	v_add_co_ci_u32_e32 v18, vcc_lo, s3, v14, vcc_lo
	s_clause 0x1
	global_load_b128 v[9:12], v[9:10], off
	global_load_b128 v[13:16], v[13:14], off
	v_add_co_u32 v22, vcc_lo, v17, s4
	s_wait_alu 0xfffd
	v_add_co_ci_u32_e32 v23, vcc_lo, s5, v18, vcc_lo
	global_load_b128 v[56:59], v[17:18], off
	v_add_co_u32 v24, vcc_lo, v22, s2
	s_wait_alu 0xfffd
	v_add_co_ci_u32_e32 v25, vcc_lo, s3, v23, vcc_lo
	;; [unrolled: 4-line block ×8, first 2 shown]
	s_delay_alu instid0(VALU_DEP_2) | instskip(SKIP_1) | instid1(VALU_DEP_2)
	v_add_co_u32 v17, vcc_lo, v24, s4
	s_wait_alu 0xfffd
	v_add_co_ci_u32_e32 v18, vcc_lo, s5, v25, vcc_lo
	global_load_b128 v[84:87], v[22:23], off
	global_load_b128 v[164:167], v20, s[8:9] offset:12096
	global_load_b128 v[88:91], v[24:25], off
	global_load_b128 v[168:171], v20, s[8:9] offset:26208
	global_load_b128 v[92:95], v[17:18], off
	s_load_b128 s[4:7], s[6:7], 0x0
	v_cmp_gt_u16_e32 vcc_lo, 0x54, v0
	s_wait_loadcnt 0x1b
	scratch_store_b128 off, v[40:43], off   ; 16-byte Folded Spill
	s_wait_loadcnt 0x1a
	scratch_store_b128 off, v[44:47], off offset:16 ; 16-byte Folded Spill
	s_wait_loadcnt 0x19
	scratch_store_b128 off, v[48:51], off offset:32 ; 16-byte Folded Spill
	;; [unrolled: 2-line block ×3, first 2 shown]
	s_wait_loadcnt 0x16
	s_clause 0x1
	scratch_store_b128 off, v[136:139], off offset:80
	scratch_store_b128 off, v[132:135], off offset:64
	s_wait_loadcnt 0x15
	scratch_store_b128 off, v[140:143], off offset:96 ; 16-byte Folded Spill
	s_wait_loadcnt 0x14
	scratch_store_b128 off, v[144:147], off offset:112 ; 16-byte Folded Spill
	s_wait_loadcnt 0x12
	s_clause 0x1
	scratch_store_b128 off, v[152:155], off offset:144
	scratch_store_b128 off, v[148:151], off offset:128
	s_wait_loadcnt 0x11
	scratch_store_b128 off, v[156:159], off offset:160 ; 16-byte Folded Spill
	s_wait_loadcnt 0x10
	scratch_store_b128 off, v[160:163], off offset:176 ; 16-byte Folded Spill
	s_wait_loadcnt 0xf
	v_mul_f64_e32 v[17:18], v[3:4], v[46:47]
	v_mul_f64_e32 v[22:23], v[1:2], v[46:47]
	s_wait_loadcnt 0xe
	v_mul_f64_e32 v[24:25], v[7:8], v[42:43]
	v_mul_f64_e32 v[26:27], v[5:6], v[42:43]
	;; [unrolled: 3-line block ×9, first 2 shown]
	v_fma_f64 v[1:2], v[1:2], v[44:45], v[17:18]
	v_fma_f64 v[3:4], v[3:4], v[44:45], -v[22:23]
	v_fma_f64 v[5:6], v[5:6], v[40:41], v[24:25]
	s_wait_loadcnt 0x6
	v_mul_f64_e32 v[112:113], v[78:79], v[150:151]
	v_mul_f64_e32 v[114:115], v[76:77], v[150:151]
	v_fma_f64 v[7:8], v[7:8], v[40:41], -v[26:27]
	v_add_co_u32 v22, s2, 0x7e, v21
	s_wait_loadcnt 0x5
	v_mul_f64_e32 v[116:117], v[82:83], v[158:159]
	v_mul_f64_e32 v[118:119], v[80:81], v[158:159]
	v_fma_f64 v[9:10], v[9:10], v[48:49], v[28:29]
	v_fma_f64 v[11:12], v[11:12], v[48:49], -v[30:31]
	v_fma_f64 v[13:14], v[13:14], v[52:53], v[32:33]
	v_fma_f64 v[15:16], v[15:16], v[52:53], -v[34:35]
	s_wait_loadcnt 0x4
	v_mul_f64_e32 v[120:121], v[86:87], v[162:163]
	v_mul_f64_e32 v[122:123], v[84:85], v[162:163]
	s_wait_loadcnt 0x2
	v_mul_f64_e32 v[124:125], v[90:91], v[166:167]
	v_mul_f64_e32 v[126:127], v[88:89], v[166:167]
	s_wait_loadcnt 0x0
	v_mul_f64_e32 v[128:129], v[94:95], v[170:171]
	v_mul_f64_e32 v[130:131], v[92:93], v[170:171]
	v_fma_f64 v[56:57], v[56:57], v[136:137], v[36:37]
	v_fma_f64 v[60:61], v[60:61], v[132:133], v[96:97]
	v_fma_f64 v[62:63], v[62:63], v[132:133], -v[98:99]
	v_fma_f64 v[58:59], v[58:59], v[136:137], -v[38:39]
	s_clause 0x1
	scratch_store_b128 off, v[164:167], off offset:200
	scratch_store_b128 off, v[168:171], off offset:216
	v_fma_f64 v[64:65], v[64:65], v[140:141], v[100:101]
	v_fma_f64 v[66:67], v[66:67], v[140:141], -v[102:103]
	v_lshlrev_b32_e32 v23, 5, v21
	v_lshlrev_b32_e32 v29, 5, v22
	;; [unrolled: 1-line block ×3, first 2 shown]
	v_fma_f64 v[68:69], v[68:69], v[144:145], v[104:105]
	v_fma_f64 v[70:71], v[70:71], v[144:145], -v[106:107]
                                        ; implicit-def: $vgpr136_vgpr137
	v_fma_f64 v[72:73], v[72:73], v[152:153], v[108:109]
	v_fma_f64 v[74:75], v[74:75], v[152:153], -v[110:111]
	v_fma_f64 v[76:77], v[76:77], v[148:149], v[112:113]
	v_fma_f64 v[78:79], v[78:79], v[148:149], -v[114:115]
	;; [unrolled: 2-line block ×6, first 2 shown]
	ds_store_b128 v20, v[1:4]
	ds_store_b128 v20, v[9:12] offset:2016
	ds_store_b128 v20, v[13:16] offset:16128
	;; [unrolled: 1-line block ×13, first 2 shown]
	global_wb scope:SCOPE_SE
	s_wait_storecnt_dscnt 0x0
	s_wait_kmcnt 0x0
	s_barrier_signal -1
	s_barrier_wait -1
	global_inv scope:SCOPE_SE
	ds_load_b128 v[1:4], v20 offset:14112
	ds_load_b128 v[5:8], v20
	ds_load_b128 v[9:12], v20 offset:2016
	ds_load_b128 v[13:16], v20 offset:16128
	;; [unrolled: 1-line block ×12, first 2 shown]
	global_wb scope:SCOPE_SE
	s_wait_dscnt 0x0
	s_barrier_signal -1
	s_barrier_wait -1
	global_inv scope:SCOPE_SE
	v_add_f64_e64 v[96:97], v[5:6], -v[1:2]
	v_add_f64_e64 v[98:99], v[7:8], -v[3:4]
	;; [unrolled: 1-line block ×14, first 2 shown]
	s_wait_alu 0xf1ff
	v_add_co_ci_u32_e64 v1, null, 0, 0, s2
	v_add_co_u32 v4, s2, 0xfc, v21
	s_wait_alu 0xf1ff
	v_add_co_ci_u32_e64 v1, null, 0, 0, s2
	v_add_co_u32 v3, s2, 0x17a, v21
	s_wait_alu 0xf1ff
	v_add_co_ci_u32_e64 v1, null, 0, 0, s2
	v_lshlrev_b32_e32 v1, 1, v21
	v_add_co_u32 v2, null, 0x1f8, v21
	v_lshlrev_b32_e32 v28, 5, v4
	v_lshlrev_b32_e32 v27, 5, v3
	s_delay_alu instid0(VALU_DEP_4)
	v_add_nc_u32_e32 v39, 0x4ec, v1
	v_add_nc_u32_e32 v40, 0x5e8, v1
	v_lshlrev_b32_e32 v26, 5, v2
	v_lshlrev_b32_e32 v17, 4, v1
	v_and_or_b32 v1, 0xfc, v1, v19
	v_lshlrev_b32_e32 v25, 4, v39
	v_lshlrev_b32_e32 v24, 4, v40
	v_fma_f64 v[5:6], v[5:6], 2.0, -v[96:97]
	v_fma_f64 v[7:8], v[7:8], 2.0, -v[98:99]
	;; [unrolled: 1-line block ×14, first 2 shown]
	ds_store_b128 v23, v[5:8]
	ds_store_b128 v23, v[96:99] offset:16
	ds_store_b128 v29, v[9:12]
	scratch_store_b32 off, v29, off offset:328 ; 4-byte Folded Spill
	ds_store_b128 v29, v[13:16] offset:16
	ds_store_b128 v28, v[60:63]
	scratch_store_b32 off, v28, off offset:324 ; 4-byte Folded Spill
	;; [unrolled: 3-line block ×4, first 2 shown]
	ds_store_b128 v26, v[72:75] offset:16
	ds_store_b128 v17, v[80:83] offset:20160
	scratch_store_b32 off, v25, off offset:312 ; 4-byte Folded Spill
	ds_store_b128 v25, v[84:87] offset:16
	ds_store_b128 v17, v[88:91] offset:24192
	scratch_store_b32 off, v24, off offset:304 ; 4-byte Folded Spill
	ds_store_b128 v24, v[92:95] offset:16
	global_wb scope:SCOPE_SE
	s_wait_storecnt_dscnt 0x0
	s_barrier_signal -1
	s_barrier_wait -1
	global_inv scope:SCOPE_SE
	global_load_b128 v[56:59], v18, s[10:11]
	ds_load_b128 v[5:8], v20 offset:14112
	ds_load_b128 v[9:12], v20 offset:16128
	;; [unrolled: 1-line block ×8, first 2 shown]
	s_wait_loadcnt_dscnt 0x7
	v_mul_f64_e32 v[17:18], v[7:8], v[58:59]
	v_mul_f64_e32 v[23:24], v[5:6], v[58:59]
	s_wait_dscnt 0x6
	v_mul_f64_e32 v[25:26], v[11:12], v[58:59]
	v_mul_f64_e32 v[27:28], v[9:10], v[58:59]
	s_wait_dscnt 0x5
	;; [unrolled: 3-line block ×6, first 2 shown]
	v_mul_f64_e32 v[86:87], v[74:75], v[58:59]
	v_mul_f64_e32 v[88:89], v[72:73], v[58:59]
	v_fma_f64 v[17:18], v[5:6], v[56:57], -v[17:18]
	v_fma_f64 v[23:24], v[7:8], v[56:57], v[23:24]
	v_fma_f64 v[25:26], v[9:10], v[56:57], -v[25:26]
	v_fma_f64 v[27:28], v[11:12], v[56:57], v[27:28]
	;; [unrolled: 2-line block ×7, first 2 shown]
	ds_load_b128 v[5:8], v20
	ds_load_b128 v[9:12], v20 offset:2016
	ds_load_b128 v[13:16], v20 offset:4032
	ds_load_b128 v[60:63], v20 offset:6048
	ds_load_b128 v[64:67], v20 offset:8064
	ds_load_b128 v[68:71], v20 offset:10080
	global_wb scope:SCOPE_SE
	s_wait_dscnt 0x0
	s_barrier_signal -1
	s_barrier_wait -1
	global_inv scope:SCOPE_SE
	v_add_f64_e64 v[72:73], v[5:6], -v[17:18]
	v_add_f64_e64 v[74:75], v[7:8], -v[23:24]
	;; [unrolled: 1-line block ×14, first 2 shown]
	v_lshlrev_b32_e32 v17, 1, v22
	v_lshlrev_b32_e32 v18, 1, v4
	;; [unrolled: 1-line block ×5, first 2 shown]
	v_and_or_b32 v1, 0x1fc, v17, v19
	v_and_or_b32 v17, 0x3fc, v18, v19
	;; [unrolled: 1-line block ×6, first 2 shown]
	v_lshlrev_b32_e32 v28, 4, v1
	v_lshlrev_b32_e32 v27, 4, v17
	;; [unrolled: 1-line block ×6, first 2 shown]
	scratch_store_b32 off, v25, off offset:252 ; 4-byte Folded Spill
	v_fma_f64 v[5:6], v[5:6], 2.0, -v[72:73]
	v_fma_f64 v[7:8], v[7:8], 2.0, -v[74:75]
	;; [unrolled: 1-line block ×14, first 2 shown]
	ds_store_b128 v25, v[5:8]
	ds_store_b128 v25, v[72:75] offset:32
	ds_store_b128 v28, v[9:12]
	scratch_store_b32 off, v28, off offset:296 ; 4-byte Folded Spill
	ds_store_b128 v28, v[80:83] offset:32
	ds_store_b128 v27, v[13:16]
	scratch_store_b32 off, v27, off offset:292 ; 4-byte Folded Spill
	;; [unrolled: 3-line block ×6, first 2 shown]
	ds_store_b128 v1, v[100:103] offset:32
	global_wb scope:SCOPE_SE
	s_wait_storecnt_dscnt 0x0
	s_barrier_signal -1
	s_barrier_wait -1
	global_inv scope:SCOPE_SE
	ds_load_b128 v[92:95], v20
	ds_load_b128 v[76:79], v20 offset:2016
	ds_load_b128 v[120:123], v20 offset:9408
	;; [unrolled: 1-line block ×11, first 2 shown]
	s_and_saveexec_b32 s2, vcc_lo
	s_cbranch_execz .LBB0_3
; %bb.2:
	ds_load_b128 v[68:71], v20 offset:8064
	ds_load_b128 v[100:103], v20 offset:17472
	;; [unrolled: 1-line block ×3, first 2 shown]
.LBB0_3:
	s_wait_alu 0xfffe
	s_or_b32 exec_lo, exec_lo, s2
	v_and_b32_e32 v17, 3, v21
	v_and_b32_e32 v15, 3, v3
	;; [unrolled: 1-line block ×3, first 2 shown]
	s_mov_b32 s2, 0xe8584caa
	s_mov_b32 s3, 0x3febb67a
	v_lshlrev_b32_e32 v0, 5, v17
	v_lshlrev_b32_e32 v1, 5, v15
	s_mov_b32 s13, 0xbfebb67a
	s_wait_alu 0xfffe
	s_mov_b32 s12, s2
	s_clause 0x5
	global_load_b128 v[72:75], v0, s[10:11] offset:32
	global_load_b128 v[64:67], v0, s[10:11] offset:48
	;; [unrolled: 1-line block ×5, first 2 shown]
	global_load_b64 v[43:44], v1, s[10:11] offset:56
	v_lshlrev_b32_e32 v0, 5, v16
	global_load_b64 v[18:19], v0, s[10:11] offset:32
	s_wait_loadcnt_dscnt 0x609
	v_mul_f64_e32 v[0:1], v[122:123], v[74:75]
	s_wait_loadcnt_dscnt 0x507
	v_mul_f64_e32 v[5:6], v[130:131], v[66:67]
	v_mul_f64_e32 v[7:8], v[120:121], v[74:75]
	;; [unrolled: 1-line block ×3, first 2 shown]
	s_wait_loadcnt 0x4
	v_mul_f64_e32 v[11:12], v[106:107], v[41:42]
	s_wait_loadcnt_dscnt 0x306
	v_mul_f64_e32 v[13:14], v[114:115], v[86:87]
	v_mul_f64_e32 v[23:24], v[104:105], v[41:42]
	;; [unrolled: 1-line block ×3, first 2 shown]
	s_wait_dscnt 0x3
	v_mul_f64_e32 v[27:28], v[126:127], v[74:75]
	s_wait_dscnt 0x1
	v_mul_f64_e32 v[29:30], v[134:135], v[66:67]
	v_mul_f64_e32 v[31:32], v[124:125], v[74:75]
	;; [unrolled: 1-line block ×3, first 2 shown]
	s_wait_loadcnt 0x2
	v_mul_f64_e32 v[35:36], v[110:111], v[80:81]
	s_wait_loadcnt_dscnt 0x100
	v_mul_f64_e32 v[37:38], v[118:119], v[43:44]
	v_mul_f64_e32 v[140:141], v[108:109], v[80:81]
	;; [unrolled: 1-line block ×7, first 2 shown]
	s_wait_loadcnt 0x0
	s_clause 0x1
	scratch_store_b64 off, v[18:19], off offset:260
	scratch_store_b128 off, v[39:42], off offset:232
	v_fma_f64 v[0:1], v[120:121], v[72:73], -v[0:1]
	v_fma_f64 v[5:6], v[128:129], v[64:65], -v[5:6]
	v_fma_f64 v[7:8], v[122:123], v[72:73], v[7:8]
	v_fma_f64 v[9:10], v[130:131], v[64:65], v[9:10]
	v_fma_f64 v[11:12], v[104:105], v[18:19], -v[11:12]
	v_fma_f64 v[13:14], v[112:113], v[82:83], -v[13:14]
	v_fma_f64 v[23:24], v[106:107], v[18:19], v[23:24]
	v_fma_f64 v[25:26], v[114:115], v[82:83], v[25:26]
	;; [unrolled: 4-line block ×5, first 2 shown]
	v_lshrrev_b32_e32 v18, 2, v2
	s_clause 0x1
	scratch_store_b64 off, v[43:44], off offset:272
	scratch_store_b32 off, v18, off offset:392
	global_wb scope:SCOPE_SE
	s_wait_storecnt 0x0
	s_barrier_signal -1
	s_barrier_wait -1
	global_inv scope:SCOPE_SE
	v_add_f64_e32 v[132:133], v[92:93], v[0:1]
	v_add_f64_e32 v[112:113], v[0:1], v[5:6]
	v_add_f64_e64 v[0:1], v[0:1], -v[5:6]
	v_add_f64_e32 v[114:115], v[7:8], v[9:10]
	v_add_f64_e64 v[134:135], v[7:8], -v[9:10]
	v_add_f64_e32 v[116:117], v[11:12], v[13:14]
	v_add_f64_e32 v[7:8], v[94:95], v[7:8]
	;; [unrolled: 1-line block ×17, first 2 shown]
	v_add_f64_e64 v[23:24], v[23:24], -v[25:26]
	v_add_f64_e64 v[31:32], v[31:32], -v[33:34]
	;; [unrolled: 1-line block ×7, first 2 shown]
	v_add_f64_e32 v[5:6], v[132:133], v[5:6]
	v_fma_f64 v[112:113], v[112:113], -0.5, v[92:93]
	v_fma_f64 v[114:115], v[114:115], -0.5, v[94:95]
	v_fma_f64 v[76:77], v[116:117], -0.5, v[76:77]
	v_add_f64_e64 v[116:117], v[11:12], -v[13:14]
	v_fma_f64 v[78:79], v[118:119], -0.5, v[78:79]
	v_add_f64_e32 v[7:8], v[7:8], v[9:10]
	v_fma_f64 v[118:119], v[120:121], -0.5, v[96:97]
	v_add_f64_e32 v[9:10], v[136:137], v[13:14]
	;; [unrolled: 2-line block ×3, first 2 shown]
	v_fma_f64 v[124:125], v[124:125], -0.5, v[88:89]
	v_lshrrev_b32_e32 v13, 2, v4
	v_fma_f64 v[126:127], v[126:127], -0.5, v[90:91]
	v_add_f64_e32 v[88:89], v[144:145], v[37:38]
	v_fma_f64 v[128:129], v[128:129], -0.5, v[68:69]
	v_add_f64_e32 v[68:69], v[140:141], v[29:30]
	;; [unrolled: 2-line block ×3, first 2 shown]
	v_add_f64_e32 v[90:91], v[146:147], v[106:107]
	v_add_f64_e32 v[120:121], v[148:149], v[108:109]
	;; [unrolled: 1-line block ×3, first 2 shown]
	v_lshrrev_b32_e32 v14, 2, v3
	v_mul_u32_u24_e32 v13, 12, v13
	s_delay_alu instid0(VALU_DEP_2) | instskip(NEXT) | instid1(VALU_DEP_2)
	v_mul_u32_u24_e32 v14, 12, v14
	v_or_b32_e32 v13, v13, v17
	s_delay_alu instid0(VALU_DEP_2)
	v_or_b32_e32 v14, v14, v15
	v_fma_f64 v[92:93], v[134:135], s[2:3], v[112:113]
	s_wait_alu 0xfffe
	v_fma_f64 v[96:97], v[134:135], s[12:13], v[112:113]
	v_fma_f64 v[94:95], v[0:1], s[12:13], v[114:115]
	;; [unrolled: 1-line block ×19, first 2 shown]
	v_lshrrev_b32_e32 v0, 2, v21
	v_lshrrev_b32_e32 v1, 2, v22
	s_delay_alu instid0(VALU_DEP_2) | instskip(NEXT) | instid1(VALU_DEP_2)
	v_mul_u32_u24_e32 v0, 12, v0
	v_mul_u32_u24_e32 v1, 12, v1
	s_delay_alu instid0(VALU_DEP_2) | instskip(NEXT) | instid1(VALU_DEP_2)
	v_or_b32_e32 v0, v0, v17
	v_or_b32_e32 v1, v1, v16
	s_delay_alu instid0(VALU_DEP_2) | instskip(NEXT) | instid1(VALU_DEP_2)
	v_lshlrev_b32_e32 v16, 4, v0
	v_lshlrev_b32_e32 v15, 4, v1
	;; [unrolled: 1-line block ×4, first 2 shown]
	ds_store_b128 v16, v[5:8]
	ds_store_b128 v16, v[92:95] offset:64
	scratch_store_b32 off, v16, off offset:308 ; 4-byte Folded Spill
	ds_store_b128 v16, v[96:99] offset:128
	ds_store_b128 v15, v[9:12]
	ds_store_b128 v15, v[100:103] offset:64
	scratch_store_b32 off, v15, off offset:300 ; 4-byte Folded Spill
	ds_store_b128 v15, v[104:107] offset:128
	;; [unrolled: 4-line block ×4, first 2 shown]
	s_and_saveexec_b32 s2, vcc_lo
	s_cbranch_execz .LBB0_5
; %bb.4:
	v_lshrrev_b32_e32 v0, 2, v2
	v_and_b32_e32 v1, 3, v21
	s_delay_alu instid0(VALU_DEP_2) | instskip(NEXT) | instid1(VALU_DEP_1)
	v_mul_u32_u24_e32 v0, 12, v0
	v_or_b32_e32 v0, v0, v1
	s_delay_alu instid0(VALU_DEP_1)
	v_lshlrev_b32_e32 v0, 4, v0
	ds_store_b128 v0, v[120:123]
	ds_store_b128 v0, v[76:79] offset:64
	ds_store_b128 v0, v[140:143] offset:128
.LBB0_5:
	s_wait_alu 0xfffe
	s_or_b32 exec_lo, exec_lo, s2
	global_wb scope:SCOPE_SE
	s_wait_storecnt_dscnt 0x0
	s_barrier_signal -1
	s_barrier_wait -1
	global_inv scope:SCOPE_SE
	ds_load_b128 v[136:139], v20
	ds_load_b128 v[132:135], v20 offset:2016
	ds_load_b128 v[92:95], v20 offset:9408
	;; [unrolled: 1-line block ×11, first 2 shown]
	v_add_co_u32 v0, s2, s8, v20
	s_wait_alu 0xf1ff
	v_add_co_ci_u32_e64 v1, null, s9, 0, s2
	scratch_store_b64 off, v[0:1], off offset:352 ; 8-byte Folded Spill
	s_and_saveexec_b32 s2, vcc_lo
	s_cbranch_execz .LBB0_7
; %bb.6:
	ds_load_b128 v[120:123], v20 offset:8064
	ds_load_b128 v[76:79], v20 offset:17472
	;; [unrolled: 1-line block ×3, first 2 shown]
.LBB0_7:
	s_wait_alu 0xfffe
	s_or_b32 exec_lo, exec_lo, s2
	v_and_b32_e32 v23, 0xff, v21
	v_and_b32_e32 v144, 0xff, v22
	s_delay_alu instid0(VALU_DEP_2) | instskip(NEXT) | instid1(VALU_DEP_1)
	v_mul_lo_u16 v0, 0xab, v23
	v_lshrrev_b16 v0, 11, v0
	s_delay_alu instid0(VALU_DEP_1) | instskip(SKIP_1) | instid1(VALU_DEP_2)
	v_mul_lo_u16 v1, v0, 12
	v_and_b32_e32 v0, 0xffff, v0
	v_sub_nc_u16 v1, v21, v1
	s_delay_alu instid0(VALU_DEP_2) | instskip(NEXT) | instid1(VALU_DEP_2)
	v_mul_u32_u24_e32 v0, 36, v0
	v_and_b32_e32 v1, 0xff, v1
	s_delay_alu instid0(VALU_DEP_1) | instskip(NEXT) | instid1(VALU_DEP_3)
	v_lshlrev_b32_e32 v7, 5, v1
	v_add_lshl_u32 v0, v0, v1, 4
	global_load_b128 v[88:91], v7, s[10:11] offset:160
	s_wait_loadcnt_dscnt 0x9
	v_mul_f64_e32 v[5:6], v[94:95], v[90:91]
	s_delay_alu instid0(VALU_DEP_1) | instskip(SKIP_1) | instid1(VALU_DEP_1)
	v_fma_f64 v[14:15], v[92:93], v[88:89], -v[5:6]
	v_mul_f64_e32 v[5:6], v[92:93], v[90:91]
	v_fma_f64 v[10:11], v[94:95], v[88:89], v[5:6]
	global_load_b128 v[92:95], v7, s[10:11] offset:176
	s_wait_loadcnt_dscnt 0x7
	v_mul_f64_e32 v[5:6], v[98:99], v[94:95]
	s_delay_alu instid0(VALU_DEP_1) | instskip(SKIP_1) | instid1(VALU_DEP_1)
	v_fma_f64 v[24:25], v[96:97], v[92:93], -v[5:6]
	v_mul_f64_e32 v[5:6], v[96:97], v[94:95]
	v_fma_f64 v[12:13], v[98:99], v[92:93], v[5:6]
	v_mul_lo_u16 v5, 0xab, v144
	s_delay_alu instid0(VALU_DEP_1) | instskip(NEXT) | instid1(VALU_DEP_1)
	v_lshrrev_b16 v16, 11, v5
	v_mul_lo_u16 v5, v16, 12
	s_delay_alu instid0(VALU_DEP_1) | instskip(NEXT) | instid1(VALU_DEP_1)
	v_sub_nc_u16 v5, v22, v5
	v_and_b32_e32 v17, 0xff, v5
	s_delay_alu instid0(VALU_DEP_1) | instskip(SKIP_4) | instid1(VALU_DEP_1)
	v_lshlrev_b32_e32 v7, 5, v17
	global_load_b128 v[96:99], v7, s[10:11] offset:160
	v_add_f64_e64 v[145:146], v[10:11], -v[12:13]
	s_wait_loadcnt 0x0
	v_mul_f64_e32 v[5:6], v[102:103], v[98:99]
	v_fma_f64 v[26:27], v[100:101], v[96:97], -v[5:6]
	v_mul_f64_e32 v[5:6], v[100:101], v[98:99]
	s_delay_alu instid0(VALU_DEP_1) | instskip(SKIP_3) | instid1(VALU_DEP_1)
	v_fma_f64 v[28:29], v[102:103], v[96:97], v[5:6]
	global_load_b128 v[100:103], v7, s[10:11] offset:176
	s_wait_loadcnt_dscnt 0x6
	v_mul_f64_e32 v[5:6], v[106:107], v[102:103]
	v_fma_f64 v[30:31], v[104:105], v[100:101], -v[5:6]
	v_mul_f64_e32 v[5:6], v[104:105], v[102:103]
	s_delay_alu instid0(VALU_DEP_1) | instskip(SKIP_1) | instid1(VALU_DEP_1)
	v_fma_f64 v[32:33], v[106:107], v[100:101], v[5:6]
	v_and_b32_e32 v5, 0xffff, v4
	v_mul_u32_u24_e32 v5, 0xaaab, v5
	s_delay_alu instid0(VALU_DEP_1) | instskip(NEXT) | instid1(VALU_DEP_1)
	v_lshrrev_b32_e32 v18, 19, v5
	v_mul_lo_u16 v5, v18, 12
	s_delay_alu instid0(VALU_DEP_1) | instskip(NEXT) | instid1(VALU_DEP_1)
	v_sub_nc_u16 v19, v4, v5
	v_lshlrev_b16 v4, 5, v19
	s_delay_alu instid0(VALU_DEP_1) | instskip(NEXT) | instid1(VALU_DEP_1)
	v_and_b32_e32 v4, 0xffff, v4
	v_add_co_u32 v4, s2, s10, v4
	s_wait_alu 0xf1ff
	v_add_co_ci_u32_e64 v5, null, s11, 0, s2
	global_load_b128 v[104:107], v[4:5], off offset:160
	s_wait_loadcnt_dscnt 0x3
	v_mul_f64_e32 v[6:7], v[110:111], v[106:107]
	s_delay_alu instid0(VALU_DEP_1) | instskip(SKIP_1) | instid1(VALU_DEP_1)
	v_fma_f64 v[34:35], v[108:109], v[104:105], -v[6:7]
	v_mul_f64_e32 v[6:7], v[108:109], v[106:107]
	v_fma_f64 v[36:37], v[110:111], v[104:105], v[6:7]
	global_load_b128 v[108:111], v[4:5], off offset:176
	s_wait_loadcnt_dscnt 0x1
	v_mul_f64_e32 v[4:5], v[114:115], v[110:111]
	s_delay_alu instid0(VALU_DEP_1) | instskip(SKIP_1) | instid1(VALU_DEP_1)
	v_fma_f64 v[38:39], v[112:113], v[108:109], -v[4:5]
	v_mul_f64_e32 v[4:5], v[112:113], v[110:111]
	v_fma_f64 v[153:154], v[114:115], v[108:109], v[4:5]
	v_and_b32_e32 v4, 0xffff, v3
	s_delay_alu instid0(VALU_DEP_1) | instskip(NEXT) | instid1(VALU_DEP_1)
	v_mul_u32_u24_e32 v4, 0xaaab, v4
	v_lshrrev_b32_e32 v40, 19, v4
	s_delay_alu instid0(VALU_DEP_1) | instskip(NEXT) | instid1(VALU_DEP_1)
	v_mul_lo_u16 v4, v40, 12
	v_sub_nc_u16 v41, v3, v4
	s_delay_alu instid0(VALU_DEP_1) | instskip(NEXT) | instid1(VALU_DEP_1)
	v_lshlrev_b16 v3, 5, v41
	v_and_b32_e32 v3, 0xffff, v3
	s_delay_alu instid0(VALU_DEP_1)
	v_add_co_u32 v3, s2, s10, v3
	s_wait_alu 0xf1ff
	v_add_co_ci_u32_e64 v4, null, s11, 0, s2
	global_load_b128 v[112:115], v[3:4], off offset:160
	s_wait_loadcnt 0x0
	v_mul_f64_e32 v[5:6], v[118:119], v[114:115]
	s_delay_alu instid0(VALU_DEP_1) | instskip(SKIP_1) | instid1(VALU_DEP_1)
	v_fma_f64 v[157:158], v[116:117], v[112:113], -v[5:6]
	v_mul_f64_e32 v[5:6], v[116:117], v[114:115]
	v_fma_f64 v[159:160], v[118:119], v[112:113], v[5:6]
	global_load_b128 v[116:119], v[3:4], off offset:176
	s_wait_loadcnt_dscnt 0x0
	v_mul_f64_e32 v[3:4], v[70:71], v[118:119]
	s_delay_alu instid0(VALU_DEP_1) | instskip(SKIP_1) | instid1(VALU_DEP_1)
	v_fma_f64 v[161:162], v[68:69], v[116:117], -v[3:4]
	v_mul_f64_e32 v[3:4], v[68:69], v[118:119]
	v_fma_f64 v[163:164], v[70:71], v[116:117], v[3:4]
	v_and_b32_e32 v3, 0xffff, v2
	s_delay_alu instid0(VALU_DEP_1) | instskip(NEXT) | instid1(VALU_DEP_1)
	v_mul_u32_u24_e32 v3, 0xaaab, v3
	v_lshrrev_b32_e32 v42, 19, v3
	s_delay_alu instid0(VALU_DEP_1) | instskip(NEXT) | instid1(VALU_DEP_1)
	v_mul_lo_u16 v3, v42, 12
	v_sub_nc_u16 v43, v2, v3
	s_delay_alu instid0(VALU_DEP_1) | instskip(NEXT) | instid1(VALU_DEP_1)
	v_lshlrev_b16 v2, 5, v43
	v_and_b32_e32 v2, 0xffff, v2
	s_delay_alu instid0(VALU_DEP_1)
	v_add_co_u32 v4, s2, s10, v2
	s_wait_alu 0xf1ff
	v_add_co_ci_u32_e64 v5, null, s11, 0, s2
	s_mov_b32 s2, 0xe8584caa
	s_mov_b32 s3, 0x3febb67a
	s_wait_alu 0xfffe
	s_mov_b32 s12, s2
	global_load_b128 v[44:47], v[4:5], off offset:160
	s_wait_loadcnt 0x0
	v_mul_f64_e32 v[2:3], v[78:79], v[46:47]
	v_mul_f64_e32 v[6:7], v[76:77], v[46:47]
	scratch_store_b128 off, v[44:47], off offset:360 ; 16-byte Folded Spill
	v_fma_f64 v[2:3], v[76:77], v[44:45], -v[2:3]
	v_fma_f64 v[8:9], v[78:79], v[44:45], v[6:7]
	global_load_b128 v[44:47], v[4:5], off offset:176
	s_wait_loadcnt 0x0
	v_mul_f64_e32 v[4:5], v[142:143], v[46:47]
	v_mul_f64_e32 v[6:7], v[140:141], v[46:47]
	scratch_store_b128 off, v[44:47], off offset:376 ; 16-byte Folded Spill
	global_wb scope:SCOPE_SE
	s_wait_storecnt 0x0
	s_barrier_signal -1
	s_barrier_wait -1
	global_inv scope:SCOPE_SE
	scratch_store_b32 off, v0, off offset:348 ; 4-byte Folded Spill
	v_fma_f64 v[4:5], v[140:141], v[44:45], -v[4:5]
	v_fma_f64 v[6:7], v[142:143], v[44:45], v[6:7]
	v_add_f64_e32 v[140:141], v[14:15], v[24:25]
	v_add_f64_e32 v[142:143], v[10:11], v[12:13]
	s_delay_alu instid0(VALU_DEP_2) | instskip(NEXT) | instid1(VALU_DEP_2)
	v_fma_f64 v[140:141], v[140:141], -0.5, v[136:137]
	v_fma_f64 v[142:143], v[142:143], -0.5, v[138:139]
	v_add_f64_e32 v[138:139], v[138:139], v[10:11]
	v_add_f64_e32 v[136:137], v[136:137], v[14:15]
	v_add_f64_e64 v[14:15], v[14:15], -v[24:25]
	s_delay_alu instid0(VALU_DEP_3) | instskip(NEXT) | instid1(VALU_DEP_3)
	v_add_f64_e32 v[12:13], v[138:139], v[12:13]
	v_add_f64_e32 v[10:11], v[136:137], v[24:25]
	s_wait_alu 0xfffe
	s_delay_alu instid0(VALU_DEP_3)
	v_fma_f64 v[138:139], v[14:15], s[12:13], v[142:143]
	v_fma_f64 v[142:143], v[14:15], s[2:3], v[142:143]
	v_add_f64_e32 v[14:15], v[26:27], v[30:31]
	v_add_f64_e32 v[24:25], v[28:29], v[32:33]
	v_fma_f64 v[136:137], v[145:146], s[2:3], v[140:141]
	v_fma_f64 v[140:141], v[145:146], s[12:13], v[140:141]
	ds_store_b128 v0, v[10:13]
	v_add_f64_e32 v[10:11], v[34:35], v[38:39]
	v_fma_f64 v[14:15], v[14:15], -0.5, v[132:133]
	v_fma_f64 v[24:25], v[24:25], -0.5, v[134:135]
	ds_store_b128 v0, v[136:139] offset:192
	v_add_f64_e32 v[134:135], v[134:135], v[28:29]
	v_add_f64_e64 v[28:29], v[28:29], -v[32:33]
	v_add_f64_e32 v[132:133], v[132:133], v[26:27]
	v_add_f64_e64 v[26:27], v[26:27], -v[30:31]
	ds_store_b128 v0, v[140:143] offset:384
	v_and_b32_e32 v0, 0xffff, v16
	s_delay_alu instid0(VALU_DEP_1) | instskip(NEXT) | instid1(VALU_DEP_1)
	v_mul_u32_u24_e32 v0, 36, v0
	v_add_lshl_u32 v0, v0, v17, 4
	v_add_f64_e32 v[134:135], v[134:135], v[32:33]
	v_fma_f64 v[145:146], v[28:29], s[2:3], v[14:15]
	v_fma_f64 v[149:150], v[28:29], s[12:13], v[14:15]
	v_fma_f64 v[14:15], v[10:11], -0.5, v[128:129]
	v_add_f64_e32 v[10:11], v[36:37], v[153:154]
	v_fma_f64 v[147:148], v[26:27], s[12:13], v[24:25]
	v_fma_f64 v[151:152], v[26:27], s[2:3], v[24:25]
	v_add_f64_e32 v[26:27], v[128:129], v[34:35]
	v_add_f64_e64 v[28:29], v[36:37], -v[153:154]
	v_add_f64_e32 v[132:133], v[132:133], v[30:31]
	v_add_f64_e64 v[30:31], v[159:160], -v[163:164]
	ds_store_b128 v0, v[132:135]
	ds_store_b128 v0, v[145:148] offset:192
	v_fma_f64 v[24:25], v[10:11], -0.5, v[130:131]
	v_add_f64_e32 v[10:11], v[130:131], v[36:37]
	v_fma_f64 v[128:129], v[28:29], s[2:3], v[14:15]
	scratch_store_b32 off, v0, off offset:344 ; 4-byte Folded Spill
	ds_store_b128 v0, v[149:152] offset:384
	v_mad_u16 v0, v18, 36, v19
	s_delay_alu instid0(VALU_DEP_1) | instskip(NEXT) | instid1(VALU_DEP_1)
	v_and_b32_e32 v0, 0xffff, v0
	v_lshlrev_b32_e32 v0, 4, v0
	v_add_f64_e32 v[12:13], v[10:11], v[153:154]
	v_add_f64_e32 v[10:11], v[26:27], v[38:39]
	v_add_f64_e64 v[26:27], v[34:35], -v[38:39]
	v_fma_f64 v[153:154], v[28:29], s[12:13], v[14:15]
	v_add_f64_e32 v[14:15], v[157:158], v[161:162]
	v_add_f64_e32 v[28:29], v[124:125], v[157:158]
	s_delay_alu instid0(VALU_DEP_4)
	v_fma_f64 v[130:131], v[26:27], s[12:13], v[24:25]
	v_fma_f64 v[155:156], v[26:27], s[2:3], v[24:25]
	v_add_f64_e32 v[24:25], v[159:160], v[163:164]
	v_add_f64_e32 v[26:27], v[126:127], v[159:160]
	v_fma_f64 v[14:15], v[14:15], -0.5, v[124:125]
	v_add_f64_e32 v[124:125], v[28:29], v[161:162]
	ds_store_b128 v0, v[10:13]
	ds_store_b128 v0, v[128:131] offset:192
	v_add_f64_e32 v[10:11], v[2:3], v[4:5]
	v_add_f64_e32 v[12:13], v[8:9], v[6:7]
	v_fma_f64 v[24:25], v[24:25], -0.5, v[126:127]
	v_add_f64_e32 v[126:127], v[26:27], v[163:164]
	v_add_f64_e64 v[26:27], v[157:158], -v[161:162]
	v_fma_f64 v[157:158], v[30:31], s[2:3], v[14:15]
	scratch_store_b32 off, v0, off offset:340 ; 4-byte Folded Spill
	ds_store_b128 v0, v[153:156] offset:384
	v_mad_u16 v0, v40, 36, v41
	v_fma_f64 v[161:162], v[30:31], s[12:13], v[14:15]
	v_add_f64_e64 v[14:15], v[8:9], -v[6:7]
	s_delay_alu instid0(VALU_DEP_3) | instskip(NEXT) | instid1(VALU_DEP_1)
	v_and_b32_e32 v0, 0xffff, v0
	v_lshlrev_b32_e32 v0, 4, v0
	v_fma_f64 v[10:11], v[10:11], -0.5, v[120:121]
	v_fma_f64 v[12:13], v[12:13], -0.5, v[122:123]
	v_fma_f64 v[159:160], v[26:27], s[12:13], v[24:25]
	ds_store_b128 v0, v[124:127]
	ds_store_b128 v0, v[157:160] offset:192
	v_add_f64_e64 v[124:125], v[2:3], -v[4:5]
	v_fma_f64 v[163:164], v[26:27], s[2:3], v[24:25]
	v_fma_f64 v[216:217], v[14:15], s[12:13], v[10:11]
	scratch_store_b32 off, v0, off offset:336 ; 4-byte Folded Spill
	v_fma_f64 v[218:219], v[124:125], s[2:3], v[12:13]
	ds_store_b128 v0, v[161:164] offset:384
	v_mad_u16 v0, v42, 36, v43
	scratch_store_b32 off, v0, off offset:332 ; 4-byte Folded Spill
	s_and_saveexec_b32 s12, vcc_lo
	s_cbranch_execz .LBB0_9
; %bb.8:
	scratch_load_b32 v0, off, off offset:332 ; 4-byte Folded Reload
	v_mul_f64_e32 v[24:25], s[2:3], v[124:125]
	v_add_f64_e32 v[26:27], v[122:123], v[8:9]
	v_add_f64_e32 v[2:3], v[120:121], v[2:3]
	v_mul_f64_e32 v[28:29], s[2:3], v[14:15]
	s_delay_alu instid0(VALU_DEP_4) | instskip(NEXT) | instid1(VALU_DEP_4)
	v_add_f64_e64 v[8:9], v[12:13], -v[24:25]
	v_add_f64_e32 v[14:15], v[26:27], v[6:7]
	s_delay_alu instid0(VALU_DEP_4) | instskip(NEXT) | instid1(VALU_DEP_4)
	v_add_f64_e32 v[12:13], v[2:3], v[4:5]
	v_add_f64_e32 v[6:7], v[28:29], v[10:11]
	s_wait_loadcnt 0x0
	v_and_b32_e32 v0, 0xffff, v0
	s_delay_alu instid0(VALU_DEP_1)
	v_lshlrev_b32_e32 v0, 4, v0
	ds_store_b128 v0, v[12:15]
	ds_store_b128 v0, v[6:9] offset:192
	ds_store_b128 v0, v[216:219] offset:384
.LBB0_9:
	s_wait_alu 0xfffe
	s_or_b32 exec_lo, exec_lo, s12
	v_mul_lo_u16 v0, v23, 57
	global_wb scope:SCOPE_SE
	s_wait_storecnt_dscnt 0x0
	s_barrier_signal -1
	s_barrier_wait -1
	global_inv scope:SCOPE_SE
	v_lshrrev_b16 v3, 11, v0
	ds_load_b128 v[4:7], v20 offset:4032
	s_mov_b32 s20, 0xe976ee23
	s_mov_b32 s21, 0xbfe11646
	;; [unrolled: 1-line block ×3, first 2 shown]
	v_mul_lo_u16 v0, v3, 36
	s_mov_b32 s12, 0x429ad128
	s_mov_b32 s3, 0x3fac98ee
	;; [unrolled: 1-line block ×4, first 2 shown]
	v_sub_nc_u16 v0, v21, v0
	s_mov_b32 s18, 0x5476071b
	s_mov_b32 s14, 0x37c3f68c
	s_mov_b32 s24, 0x37e14327
	s_mov_b32 s17, 0xbff2aaaa
	v_and_b32_e32 v2, 0xff, v0
	v_mul_lo_u16 v0, v144, 57
	s_mov_b32 s19, 0x3fe77f67
	s_mov_b32 s15, 0x3fdc38aa
	;; [unrolled: 1-line block ×3, first 2 shown]
	v_mad_co_u64_u32 v[10:11], null, 0x60, v2, s[10:11]
	s_mov_b32 s22, 0xb247c609
	s_mov_b32 s27, 0xbfe77f67
	;; [unrolled: 1-line block ×5, first 2 shown]
	s_wait_alu 0xfffe
	s_mov_b32 s26, s18
	s_clause 0x4
	global_load_b128 v[120:123], v[10:11], off offset:544
	global_load_b128 v[124:127], v[10:11], off offset:560
	;; [unrolled: 1-line block ×5, first 2 shown]
	s_wait_loadcnt_dscnt 0x400
	v_mul_f64_e32 v[8:9], v[6:7], v[122:123]
	s_delay_alu instid0(VALU_DEP_1) | instskip(SKIP_1) | instid1(VALU_DEP_1)
	v_fma_f64 v[14:15], v[4:5], v[120:121], -v[8:9]
	v_mul_f64_e32 v[4:5], v[4:5], v[122:123]
	v_fma_f64 v[23:24], v[6:7], v[120:121], v[4:5]
	ds_load_b128 v[4:7], v20 offset:8064
	s_wait_loadcnt_dscnt 0x300
	v_mul_f64_e32 v[8:9], v[6:7], v[126:127]
	s_delay_alu instid0(VALU_DEP_1) | instskip(SKIP_1) | instid1(VALU_DEP_1)
	v_fma_f64 v[25:26], v[4:5], v[124:125], -v[8:9]
	v_mul_f64_e32 v[4:5], v[4:5], v[126:127]
	v_fma_f64 v[27:28], v[6:7], v[124:125], v[4:5]
	ds_load_b128 v[4:7], v20 offset:24192
	s_wait_loadcnt_dscnt 0x200
	v_mul_f64_e32 v[8:9], v[6:7], v[130:131]
	s_delay_alu instid0(VALU_DEP_1) | instskip(SKIP_1) | instid1(VALU_DEP_2)
	v_fma_f64 v[29:30], v[4:5], v[128:129], -v[8:9]
	v_mul_f64_e32 v[4:5], v[4:5], v[130:131]
	v_add_f64_e32 v[176:177], v[14:15], v[29:30]
	s_delay_alu instid0(VALU_DEP_2)
	v_fma_f64 v[31:32], v[6:7], v[128:129], v[4:5]
	ds_load_b128 v[4:7], v20 offset:20160
	v_add_f64_e64 v[14:15], v[14:15], -v[29:30]
	s_wait_loadcnt_dscnt 0x100
	v_mul_f64_e32 v[8:9], v[6:7], v[134:135]
	v_add_f64_e32 v[184:185], v[23:24], v[31:32]
	s_delay_alu instid0(VALU_DEP_2) | instskip(SKIP_1) | instid1(VALU_DEP_2)
	v_fma_f64 v[33:34], v[4:5], v[132:133], -v[8:9]
	v_mul_f64_e32 v[4:5], v[4:5], v[134:135]
	v_add_f64_e32 v[178:179], v[25:26], v[33:34]
	s_delay_alu instid0(VALU_DEP_2) | instskip(SKIP_4) | instid1(VALU_DEP_1)
	v_fma_f64 v[35:36], v[6:7], v[132:133], v[4:5]
	v_lshrrev_b16 v4, 11, v0
	ds_load_b128 v[6:9], v20 offset:6048
	v_add_f64_e64 v[25:26], v[25:26], -v[33:34]
	v_mul_lo_u16 v0, v4, 36
	v_sub_nc_u16 v0, v22, v0
	v_add_f64_e64 v[22:23], v[23:24], -v[31:32]
	s_delay_alu instid0(VALU_DEP_2) | instskip(SKIP_1) | instid1(VALU_DEP_2)
	v_and_b32_e32 v5, 0xff, v0
	v_and_b32_e32 v0, 0xffff, v3
	v_mad_co_u64_u32 v[12:13], null, 0x60, v5, s[10:11]
	s_delay_alu instid0(VALU_DEP_2)
	v_mul_u32_u24_e32 v0, 0xfc, v0
	s_clause 0x2
	global_load_b128 v[136:139], v[12:13], off offset:544
	global_load_b128 v[140:143], v[12:13], off offset:560
	;; [unrolled: 1-line block ×3, first 2 shown]
	v_add_f64_e32 v[186:187], v[27:28], v[35:36]
	v_add_f64_e64 v[27:28], v[27:28], -v[35:36]
	v_add_f64_e64 v[35:36], v[25:26], -v[14:15]
	s_delay_alu instid0(VALU_DEP_2) | instskip(SKIP_2) | instid1(VALU_DEP_1)
	v_add_f64_e64 v[236:237], v[27:28], -v[22:23]
	s_wait_loadcnt_dscnt 0x200
	v_mul_f64_e32 v[37:38], v[8:9], v[138:139]
	v_fma_f64 v[37:38], v[6:7], v[136:137], -v[37:38]
	v_mul_f64_e32 v[6:7], v[6:7], v[138:139]
	s_delay_alu instid0(VALU_DEP_1) | instskip(SKIP_3) | instid1(VALU_DEP_1)
	v_fma_f64 v[192:193], v[8:9], v[136:137], v[6:7]
	ds_load_b128 v[6:9], v20 offset:10080
	s_wait_loadcnt_dscnt 0x100
	v_mul_f64_e32 v[144:145], v[8:9], v[142:143]
	v_fma_f64 v[194:195], v[6:7], v[140:141], -v[144:145]
	global_load_b128 v[144:147], v[12:13], off offset:624
	v_mul_f64_e32 v[6:7], v[6:7], v[142:143]
	s_delay_alu instid0(VALU_DEP_1) | instskip(SKIP_3) | instid1(VALU_DEP_1)
	v_fma_f64 v[196:197], v[8:9], v[140:141], v[6:7]
	ds_load_b128 v[6:9], v20 offset:26208
	s_wait_loadcnt_dscnt 0x0
	v_mul_f64_e32 v[148:149], v[8:9], v[146:147]
	v_fma_f64 v[198:199], v[6:7], v[144:145], -v[148:149]
	global_load_b128 v[148:151], v[12:13], off offset:608
	v_mul_f64_e32 v[6:7], v[6:7], v[146:147]
	v_add_f64_e32 v[214:215], v[37:38], v[198:199]
	s_delay_alu instid0(VALU_DEP_2) | instskip(SKIP_4) | instid1(VALU_DEP_1)
	v_fma_f64 v[200:201], v[8:9], v[144:145], v[6:7]
	ds_load_b128 v[6:9], v20 offset:22176
	v_add_f64_e32 v[226:227], v[192:193], v[200:201]
	s_wait_loadcnt_dscnt 0x0
	v_mul_f64_e32 v[152:153], v[8:9], v[150:151]
	v_fma_f64 v[202:203], v[6:7], v[148:149], -v[152:153]
	global_load_b128 v[152:155], v[10:11], off offset:576
	v_mul_f64_e32 v[6:7], v[6:7], v[150:151]
	v_add_f64_e32 v[220:221], v[194:195], v[202:203]
	s_delay_alu instid0(VALU_DEP_2) | instskip(SKIP_4) | instid1(VALU_DEP_1)
	v_fma_f64 v[204:205], v[8:9], v[148:149], v[6:7]
	ds_load_b128 v[6:9], v20 offset:12096
	v_add_f64_e32 v[228:229], v[196:197], v[204:205]
	s_wait_loadcnt_dscnt 0x0
	v_mul_f64_e32 v[156:157], v[8:9], v[154:155]
	v_fma_f64 v[168:169], v[6:7], v[152:153], -v[156:157]
	global_load_b128 v[156:159], v[12:13], off offset:576
	v_mul_f64_e32 v[6:7], v[6:7], v[154:155]
	s_delay_alu instid0(VALU_DEP_1) | instskip(SKIP_3) | instid1(VALU_DEP_1)
	v_fma_f64 v[170:171], v[8:9], v[152:153], v[6:7]
	ds_load_b128 v[6:9], v20 offset:16128
	s_wait_dscnt 0x0
	v_mul_f64_e32 v[10:11], v[8:9], v[162:163]
	v_fma_f64 v[172:173], v[6:7], v[160:161], -v[10:11]
	v_mul_f64_e32 v[6:7], v[6:7], v[162:163]
	s_delay_alu instid0(VALU_DEP_2) | instskip(NEXT) | instid1(VALU_DEP_2)
	v_add_f64_e64 v[33:34], v[172:173], -v[168:169]
	v_fma_f64 v[174:175], v[8:9], v[160:161], v[6:7]
	ds_load_b128 v[6:9], v20 offset:14112
	v_add_f64_e32 v[180:181], v[168:169], v[172:173]
	v_add_f64_e64 v[31:32], v[33:34], -v[25:26]
	v_add_f64_e64 v[29:30], v[174:175], -v[170:171]
	v_add_f64_e32 v[188:189], v[170:171], v[174:175]
	v_add_f64_e32 v[24:25], v[33:34], v[25:26]
	v_add_f64_e64 v[238:239], v[180:181], -v[178:179]
	v_mul_f64_e32 v[31:32], s[20:21], v[31:32]
	v_add_f64_e64 v[168:169], v[29:30], -v[27:28]
	v_add_f64_e32 v[26:27], v[29:30], v[27:28]
	v_add_f64_e32 v[24:25], v[24:25], v[14:15]
	v_add_f64_e64 v[240:241], v[188:189], -v[186:187]
	v_add_f64_e64 v[14:15], v[14:15], -v[33:34]
	v_mul_f64_e32 v[33:34], s[12:13], v[236:237]
	v_fma_f64 v[172:173], v[35:36], s[12:13], -v[31:32]
	v_mul_f64_e32 v[242:243], s[20:21], v[168:169]
	v_mul_f64_e32 v[168:169], s[2:3], v[238:239]
	v_add_f64_e32 v[26:27], v[26:27], v[22:23]
	v_add_f64_e64 v[22:23], v[22:23], -v[29:30]
	v_mul_f64_e32 v[28:29], s[12:13], v[35:36]
	v_mul_f64_e32 v[170:171], s[2:3], v[240:241]
	v_fma_f64 v[174:175], v[24:25], s[14:15], v[172:173]
	v_fma_f64 v[172:173], v[236:237], s[12:13], -v[242:243]
	v_fma_f64 v[33:34], v[22:23], s[28:29], -v[33:34]
	;; [unrolled: 1-line block ×3, first 2 shown]
	v_fma_f64 v[14:15], v[14:15], s[22:23], v[31:32]
	v_fma_f64 v[22:23], v[22:23], s[22:23], v[242:243]
	s_wait_loadcnt_dscnt 0x0
	v_mul_f64_e32 v[10:11], v[8:9], v[158:159]
	v_fma_f64 v[172:173], v[26:27], s[14:15], v[172:173]
	v_fma_f64 v[33:34], v[26:27], s[14:15], v[33:34]
	v_fma_f64 v[28:29], v[24:25], s[14:15], v[28:29]
	v_fma_f64 v[14:15], v[24:25], s[14:15], v[14:15]
	v_fma_f64 v[22:23], v[26:27], s[14:15], v[22:23]
	v_fma_f64 v[206:207], v[6:7], v[156:157], -v[10:11]
	v_mul_f64_e32 v[6:7], v[6:7], v[158:159]
	s_delay_alu instid0(VALU_DEP_1) | instskip(SKIP_3) | instid1(VALU_DEP_1)
	v_fma_f64 v[208:209], v[8:9], v[156:157], v[6:7]
	ds_load_b128 v[6:9], v20 offset:18144
	s_wait_dscnt 0x0
	v_mul_f64_e32 v[10:11], v[8:9], v[166:167]
	v_fma_f64 v[210:211], v[6:7], v[164:165], -v[10:11]
	v_mul_f64_e32 v[6:7], v[6:7], v[166:167]
	v_add_f64_e32 v[10:11], v[220:221], v[214:215]
	s_delay_alu instid0(VALU_DEP_3) | instskip(NEXT) | instid1(VALU_DEP_3)
	v_add_f64_e32 v[222:223], v[206:207], v[210:211]
	v_fma_f64 v[212:213], v[8:9], v[164:165], v[6:7]
	v_add_f64_e32 v[6:7], v[178:179], v[176:177]
	v_add_f64_e64 v[178:179], v[178:179], -v[176:177]
	v_add_f64_e64 v[176:177], v[176:177], -v[180:181]
	v_add_f64_e32 v[224:225], v[222:223], v[10:11]
	v_add_f64_e32 v[230:231], v[208:209], v[212:213]
	;; [unrolled: 1-line block ×5, first 2 shown]
	v_add_f64_e64 v[180:181], v[184:185], -v[188:189]
	v_add_f64_e64 v[186:187], v[186:187], -v[184:185]
	v_fma_f64 v[168:169], v[178:179], s[18:19], -v[168:169]
	v_mul_f64_e32 v[35:36], s[24:25], v[176:177]
	v_add_f64_e32 v[190:191], v[188:189], v[6:7]
	ds_load_b128 v[6:9], v20
	v_add_f64_e32 v[234:235], v[230:231], v[10:11]
	ds_load_b128 v[10:13], v20 offset:2016
	v_mul_f64_e32 v[184:185], s[24:25], v[180:181]
	v_fma_f64 v[176:177], v[178:179], s[26:27], -v[35:36]
	v_fma_f64 v[170:171], v[186:187], s[18:19], -v[170:171]
	global_wb scope:SCOPE_SE
	s_wait_dscnt 0x0
	s_barrier_signal -1
	s_barrier_wait -1
	global_inv scope:SCOPE_SE
	v_add_f64_e32 v[6:7], v[6:7], v[182:183]
	v_add_f64_e32 v[10:11], v[10:11], v[224:225]
	;; [unrolled: 1-line block ×4, first 2 shown]
	v_fma_f64 v[178:179], v[186:187], s[26:27], -v[184:185]
	v_fma_f64 v[30:31], v[240:241], s[2:3], v[184:185]
	v_fma_f64 v[244:245], v[182:183], s[16:17], v[6:7]
	;; [unrolled: 1-line block ×3, first 2 shown]
	s_delay_alu instid0(VALU_DEP_2) | instskip(SKIP_1) | instid1(VALU_DEP_3)
	v_add_f64_e32 v[182:183], v[168:169], v[244:245]
	v_add_f64_e32 v[180:181], v[176:177], v[244:245]
	;; [unrolled: 1-line block ×4, first 2 shown]
	v_add_f64_e64 v[30:31], v[192:193], -v[200:201]
	v_add_f64_e64 v[200:201], v[220:221], -v[214:215]
	;; [unrolled: 1-line block ×3, first 2 shown]
	v_add_f64_e32 v[172:173], v[172:173], v[182:183]
	v_add_f64_e32 v[182:183], v[178:179], v[190:191]
	;; [unrolled: 1-line block ×3, first 2 shown]
	v_add_f64_e64 v[180:181], v[180:181], -v[33:34]
	v_add_f64_e64 v[186:187], v[26:27], -v[14:15]
	v_add_f64_e32 v[190:191], v[14:15], v[26:27]
	v_add_f64_e64 v[14:15], v[194:195], -v[202:203]
	v_add_f64_e64 v[26:27], v[196:197], -v[204:205]
	;; [unrolled: 1-line block ×3, first 2 shown]
	v_add_f64_e32 v[170:171], v[174:175], v[246:247]
	v_add_f64_e64 v[174:175], v[246:247], -v[174:175]
	v_add_f64_e64 v[178:179], v[182:183], -v[28:29]
	v_add_f64_e32 v[182:183], v[28:29], v[182:183]
	v_fma_f64 v[28:29], v[238:239], s[2:3], v[35:36]
	s_delay_alu instid0(VALU_DEP_1)
	v_add_f64_e32 v[24:25], v[28:29], v[244:245]
	v_add_f64_e64 v[28:29], v[212:213], -v[208:209]
	v_add_f64_e64 v[208:209], v[222:223], -v[220:221]
	v_fma_f64 v[212:213], v[224:225], s[16:17], v[10:11]
	v_fma_f64 v[220:221], v[234:235], s[16:17], v[12:13]
	v_add_f64_e32 v[184:185], v[22:23], v[24:25]
	v_add_f64_e64 v[188:189], v[24:25], -v[22:23]
	v_add_f64_e64 v[22:23], v[210:211], -v[206:207]
	;; [unrolled: 1-line block ×6, first 2 shown]
	v_add_f64_e32 v[26:27], v[28:29], v[26:27]
	v_mul_f64_e32 v[192:193], s[2:3], v[208:209]
	v_add_f64_e64 v[32:33], v[22:23], -v[14:15]
	v_add_f64_e64 v[34:35], v[14:15], -v[24:25]
	v_add_f64_e32 v[14:15], v[22:23], v[14:15]
	v_mul_f64_e32 v[36:37], s[20:21], v[36:37]
	v_mul_f64_e32 v[194:195], s[2:3], v[210:211]
	v_add_f64_e32 v[26:27], v[26:27], v[30:31]
	v_fma_f64 v[192:193], v[200:201], s[18:19], -v[192:193]
	v_add_f64_e64 v[22:23], v[24:25], -v[22:23]
	v_mul_f64_e32 v[32:33], s[20:21], v[32:33]
	v_add_f64_e32 v[14:15], v[14:15], v[24:25]
	v_add_f64_e64 v[24:25], v[30:31], -v[28:29]
	v_fma_f64 v[194:195], v[202:203], s[18:19], -v[194:195]
	v_mul_f64_e32 v[28:29], s[12:13], v[34:35]
	v_add_f64_e32 v[204:205], v[192:193], v[212:213]
	v_mul_f64_e32 v[30:31], s[12:13], v[38:39]
	v_fma_f64 v[196:197], v[34:35], s[12:13], -v[32:33]
	v_add_f64_e32 v[206:207], v[194:195], v[220:221]
	v_fma_f64 v[28:29], v[22:23], s[28:29], -v[28:29]
	v_fma_f64 v[22:23], v[22:23], s[22:23], v[32:33]
	v_fma_f64 v[30:31], v[24:25], s[28:29], -v[30:31]
	v_fma_f64 v[24:25], v[24:25], s[22:23], v[36:37]
	v_fma_f64 v[198:199], v[14:15], s[14:15], v[196:197]
	v_fma_f64 v[196:197], v[38:39], s[12:13], -v[36:37]
	v_fma_f64 v[28:29], v[14:15], s[14:15], v[28:29]
	v_fma_f64 v[14:15], v[14:15], s[14:15], v[22:23]
	;; [unrolled: 1-line block ×4, first 2 shown]
	v_add_f64_e32 v[194:195], v[198:199], v[206:207]
	v_fma_f64 v[196:197], v[26:27], s[14:15], v[196:197]
	v_add_f64_e64 v[198:199], v[206:207], -v[198:199]
	v_add_f64_e64 v[206:207], v[226:227], -v[230:231]
	s_delay_alu instid0(VALU_DEP_3) | instskip(SKIP_2) | instid1(VALU_DEP_4)
	v_add_f64_e64 v[192:193], v[204:205], -v[196:197]
	v_add_f64_e32 v[196:197], v[196:197], v[204:205]
	v_add_f64_e64 v[204:205], v[214:215], -v[222:223]
	v_mul_f64_e32 v[38:39], s[24:25], v[206:207]
	s_delay_alu instid0(VALU_DEP_2) | instskip(NEXT) | instid1(VALU_DEP_2)
	v_mul_f64_e32 v[34:35], s[24:25], v[204:205]
	v_fma_f64 v[202:203], v[202:203], s[26:27], -v[38:39]
	s_delay_alu instid0(VALU_DEP_2) | instskip(NEXT) | instid1(VALU_DEP_2)
	v_fma_f64 v[200:201], v[200:201], s[26:27], -v[34:35]
	v_add_f64_e32 v[206:207], v[202:203], v[220:221]
	s_delay_alu instid0(VALU_DEP_2) | instskip(NEXT) | instid1(VALU_DEP_2)
	v_add_f64_e32 v[204:205], v[200:201], v[212:213]
	v_add_f64_e64 v[202:203], v[206:207], -v[28:29]
	v_add_f64_e32 v[206:207], v[28:29], v[206:207]
	v_fma_f64 v[28:29], v[208:209], s[2:3], v[34:35]
	s_delay_alu instid0(VALU_DEP_4) | instskip(SKIP_2) | instid1(VALU_DEP_4)
	v_add_f64_e32 v[200:201], v[30:31], v[204:205]
	v_add_f64_e64 v[204:205], v[204:205], -v[30:31]
	v_fma_f64 v[30:31], v[210:211], s[2:3], v[38:39]
	v_add_f64_e32 v[24:25], v[28:29], v[212:213]
	s_delay_alu instid0(VALU_DEP_2) | instskip(NEXT) | instid1(VALU_DEP_2)
	v_add_f64_e32 v[26:27], v[30:31], v[220:221]
	v_add_f64_e32 v[208:209], v[22:23], v[24:25]
	v_add_f64_e64 v[212:213], v[24:25], -v[22:23]
	v_add_lshl_u32 v23, v0, v2, 4
	v_and_b32_e32 v0, 0xffff, v4
	ds_store_b128 v23, v[6:9]
	ds_store_b128 v23, v[184:187] offset:576
	ds_store_b128 v23, v[176:179] offset:1152
	;; [unrolled: 1-line block ×6, first 2 shown]
	v_mul_u32_u24_e32 v0, 0xfc, v0
	v_mad_co_u64_u32 v[6:7], null, 0x60, v21, s[10:11]
	s_delay_alu instid0(VALU_DEP_2)
	v_add_lshl_u32 v22, v0, v5, 4
	v_add_f64_e64 v[210:211], v[26:27], -v[14:15]
	v_add_f64_e32 v[214:215], v[14:15], v[26:27]
	ds_store_b128 v22, v[10:13]
	ds_store_b128 v22, v[208:211] offset:576
	ds_store_b128 v22, v[200:203] offset:1152
	ds_store_b128 v22, v[192:195] offset:1728
	ds_store_b128 v22, v[196:199] offset:2304
	ds_store_b128 v22, v[204:207] offset:2880
	ds_store_b128 v22, v[212:215] offset:3456
	global_wb scope:SCOPE_SE
	s_wait_dscnt 0x0
	s_barrier_signal -1
	s_barrier_wait -1
	global_inv scope:SCOPE_SE
	s_clause 0x3
	global_load_b128 v[168:171], v[6:7], off offset:4000
	global_load_b128 v[172:175], v[6:7], off offset:4016
	;; [unrolled: 1-line block ×4, first 2 shown]
	ds_load_b128 v[2:5], v20 offset:4032
	s_clause 0x7
	global_load_b128 v[184:187], v[6:7], off offset:16096
	global_load_b128 v[188:191], v[6:7], off offset:16112
	;; [unrolled: 1-line block ×8, first 2 shown]
	s_wait_loadcnt_dscnt 0xb00
	v_mul_f64_e32 v[8:9], v[4:5], v[170:171]
	s_delay_alu instid0(VALU_DEP_1) | instskip(SKIP_1) | instid1(VALU_DEP_1)
	v_fma_f64 v[10:11], v[2:3], v[168:169], -v[8:9]
	v_mul_f64_e32 v[2:3], v[2:3], v[170:171]
	v_fma_f64 v[12:13], v[4:5], v[168:169], v[2:3]
	ds_load_b128 v[2:5], v20 offset:8064
	s_wait_loadcnt_dscnt 0xa00
	v_mul_f64_e32 v[8:9], v[4:5], v[174:175]
	s_delay_alu instid0(VALU_DEP_1) | instskip(SKIP_1) | instid1(VALU_DEP_1)
	v_fma_f64 v[14:15], v[2:3], v[172:173], -v[8:9]
	v_mul_f64_e32 v[2:3], v[2:3], v[174:175]
	v_fma_f64 v[24:25], v[4:5], v[172:173], v[2:3]
	ds_load_b128 v[2:5], v20 offset:24192
	s_wait_loadcnt_dscnt 0x900
	v_mul_f64_e32 v[8:9], v[4:5], v[178:179]
	s_delay_alu instid0(VALU_DEP_1) | instskip(SKIP_1) | instid1(VALU_DEP_2)
	v_fma_f64 v[26:27], v[2:3], v[176:177], -v[8:9]
	v_mul_f64_e32 v[2:3], v[2:3], v[178:179]
	v_add_f64_e32 v[240:241], v[10:11], v[26:27]
	s_delay_alu instid0(VALU_DEP_2)
	v_fma_f64 v[28:29], v[4:5], v[176:177], v[2:3]
	ds_load_b128 v[2:5], v20 offset:20160
	v_add_f64_e64 v[26:27], v[10:11], -v[26:27]
	s_wait_loadcnt_dscnt 0x800
	v_mul_f64_e32 v[8:9], v[4:5], v[182:183]
	v_add_f64_e32 v[248:249], v[12:13], v[28:29]
	v_add_f64_e64 v[28:29], v[12:13], -v[28:29]
	s_delay_alu instid0(VALU_DEP_3) | instskip(SKIP_1) | instid1(VALU_DEP_2)
	v_fma_f64 v[30:31], v[2:3], v[180:181], -v[8:9]
	v_mul_f64_e32 v[2:3], v[2:3], v[182:183]
	v_add_f64_e32 v[242:243], v[14:15], v[30:31]
	s_delay_alu instid0(VALU_DEP_2)
	v_fma_f64 v[32:33], v[4:5], v[180:181], v[2:3]
	ds_load_b128 v[2:5], v20 offset:6048
	v_add_f64_e64 v[14:15], v[14:15], -v[30:31]
	s_wait_loadcnt_dscnt 0x700
	v_mul_f64_e32 v[8:9], v[4:5], v[186:187]
	v_add_f64_e64 v[70:71], v[242:243], -v[240:241]
	v_add_f64_e32 v[250:251], v[24:25], v[32:33]
	v_add_f64_e64 v[10:11], v[24:25], -v[32:33]
	v_add_f64_e64 v[32:33], v[14:15], -v[26:27]
	v_fma_f64 v[34:35], v[2:3], v[184:185], -v[8:9]
	v_mul_f64_e32 v[2:3], v[2:3], v[186:187]
	v_add_f64_e64 v[78:79], v[250:251], -v[248:249]
	s_delay_alu instid0(VALU_DEP_2) | instskip(SKIP_3) | instid1(VALU_DEP_1)
	v_fma_f64 v[36:37], v[4:5], v[184:185], v[2:3]
	ds_load_b128 v[2:5], v20 offset:10080
	s_wait_loadcnt_dscnt 0x600
	v_mul_f64_e32 v[8:9], v[4:5], v[190:191]
	v_fma_f64 v[38:39], v[2:3], v[188:189], -v[8:9]
	v_mul_f64_e32 v[2:3], v[2:3], v[190:191]
	s_delay_alu instid0(VALU_DEP_1) | instskip(SKIP_3) | instid1(VALU_DEP_1)
	v_fma_f64 v[220:221], v[4:5], v[188:189], v[2:3]
	ds_load_b128 v[2:5], v20 offset:26208
	s_wait_loadcnt_dscnt 0x500
	v_mul_f64_e32 v[8:9], v[4:5], v[194:195]
	v_fma_f64 v[222:223], v[2:3], v[192:193], -v[8:9]
	v_mul_f64_e32 v[2:3], v[2:3], v[194:195]
	s_delay_alu instid0(VALU_DEP_2) | instskip(NEXT) | instid1(VALU_DEP_2)
	v_add_f64_e32 v[46:47], v[34:35], v[222:223]
	v_fma_f64 v[224:225], v[4:5], v[192:193], v[2:3]
	ds_load_b128 v[2:5], v20 offset:22176
	s_wait_loadcnt_dscnt 0x400
	v_mul_f64_e32 v[8:9], v[4:5], v[198:199]
	v_add_f64_e32 v[50:51], v[36:37], v[224:225]
	s_delay_alu instid0(VALU_DEP_2) | instskip(SKIP_1) | instid1(VALU_DEP_2)
	v_fma_f64 v[226:227], v[2:3], v[196:197], -v[8:9]
	v_mul_f64_e32 v[2:3], v[2:3], v[198:199]
	v_add_f64_e32 v[16:17], v[38:39], v[226:227]
	s_delay_alu instid0(VALU_DEP_2) | instskip(SKIP_4) | instid1(VALU_DEP_2)
	v_fma_f64 v[228:229], v[4:5], v[196:197], v[2:3]
	ds_load_b128 v[2:5], v20 offset:12096
	s_wait_loadcnt_dscnt 0x300
	v_mul_f64_e32 v[8:9], v[4:5], v[202:203]
	v_add_f64_e32 v[52:53], v[220:221], v[228:229]
	v_fma_f64 v[230:231], v[2:3], v[200:201], -v[8:9]
	v_mul_f64_e32 v[2:3], v[2:3], v[202:203]
	s_delay_alu instid0(VALU_DEP_1) | instskip(SKIP_3) | instid1(VALU_DEP_1)
	v_fma_f64 v[234:235], v[4:5], v[200:201], v[2:3]
	ds_load_b128 v[2:5], v20 offset:16128
	s_wait_loadcnt_dscnt 0x200
	v_mul_f64_e32 v[8:9], v[4:5], v[210:211]
	v_fma_f64 v[236:237], v[2:3], v[208:209], -v[8:9]
	v_mul_f64_e32 v[2:3], v[2:3], v[210:211]
	s_delay_alu instid0(VALU_DEP_2) | instskip(NEXT) | instid1(VALU_DEP_2)
	v_add_f64_e64 v[30:31], v[236:237], -v[230:231]
	v_fma_f64 v[238:239], v[4:5], v[208:209], v[2:3]
	ds_load_b128 v[2:5], v20 offset:14112
	v_add_f64_e32 v[244:245], v[230:231], v[236:237]
	s_wait_loadcnt_dscnt 0x100
	v_mul_f64_e32 v[8:9], v[4:5], v[206:207]
	v_add_f64_e64 v[12:13], v[30:31], -v[14:15]
	v_add_f64_e32 v[252:253], v[234:235], v[238:239]
	v_add_f64_e64 v[24:25], v[238:239], -v[234:235]
	v_add_f64_e32 v[14:15], v[30:31], v[14:15]
	v_add_f64_e64 v[238:239], v[10:11], -v[28:29]
	v_add_f64_e64 v[68:69], v[244:245], -v[242:243]
	v_fma_f64 v[254:255], v[2:3], v[204:205], -v[8:9]
	v_mul_f64_e32 v[2:3], v[2:3], v[206:207]
	v_add_f64_e64 v[76:77], v[252:253], -v[250:251]
	v_add_f64_e64 v[230:231], v[24:25], -v[10:11]
	v_add_f64_e32 v[10:11], v[24:25], v[10:11]
	v_add_f64_e32 v[14:15], v[14:15], v[26:27]
	v_add_f64_e64 v[26:27], v[26:27], -v[30:31]
	v_add_f64_e64 v[24:25], v[28:29], -v[24:25]
	v_mul_f64_e32 v[30:31], s[12:13], v[238:239]
	v_fma_f64 v[232:233], v[4:5], v[204:205], v[2:3]
	ds_load_b128 v[2:5], v20 offset:18144
	v_mul_f64_e32 v[230:231], s[20:21], v[230:231]
	v_add_f64_e32 v[60:61], v[10:11], v[28:29]
	v_mul_f64_e32 v[10:11], s[2:3], v[68:69]
	v_mul_f64_e32 v[28:29], s[12:13], v[32:33]
	s_wait_loadcnt_dscnt 0x0
	v_mul_f64_e32 v[6:7], v[4:5], v[214:215]
	v_fma_f64 v[30:31], v[24:25], s[28:29], -v[30:31]
	v_fma_f64 v[24:25], v[24:25], s[22:23], v[230:231]
	v_fma_f64 v[10:11], v[70:71], s[18:19], -v[10:11]
	v_fma_f64 v[28:29], v[26:27], s[28:29], -v[28:29]
	;; [unrolled: 1-line block ×3, first 2 shown]
	v_mul_f64_e32 v[2:3], v[2:3], v[214:215]
	v_add_f64_e32 v[6:7], v[16:17], v[46:47]
	v_fma_f64 v[30:31], v[60:61], s[14:15], v[30:31]
	v_fma_f64 v[24:25], v[60:61], s[14:15], v[24:25]
	;; [unrolled: 1-line block ×3, first 2 shown]
	v_add_f64_e32 v[18:19], v[254:255], v[40:41]
	v_fma_f64 v[42:43], v[4:5], v[212:213], v[2:3]
	v_add_f64_e32 v[2:3], v[242:243], v[240:241]
	v_add_f64_e64 v[240:241], v[240:241], -v[244:245]
	s_delay_alu instid0(VALU_DEP_4) | instskip(NEXT) | instid1(VALU_DEP_4)
	v_add_f64_e32 v[48:49], v[18:19], v[6:7]
	v_add_f64_e32 v[54:55], v[232:233], v[42:43]
	s_delay_alu instid0(VALU_DEP_4) | instskip(SKIP_4) | instid1(VALU_DEP_4)
	v_add_f64_e32 v[246:247], v[244:245], v[2:3]
	v_add_f64_e32 v[2:3], v[250:251], v[248:249]
	;; [unrolled: 1-line block ×3, first 2 shown]
	v_mul_f64_e32 v[250:251], s[20:21], v[12:13]
	v_mul_f64_e32 v[12:13], s[2:3], v[76:77]
	v_add_f64_e32 v[44:45], v[252:253], v[2:3]
	ds_load_b128 v[2:5], v20
	v_add_f64_e32 v[0:1], v[54:55], v[6:7]
	ds_load_b128 v[6:9], v20 offset:2016
	v_fma_f64 v[234:235], v[32:33], s[12:13], -v[250:251]
	v_fma_f64 v[12:13], v[78:79], s[18:19], -v[12:13]
	v_mul_f64_e32 v[32:33], s[24:25], v[240:241]
	v_fma_f64 v[26:27], v[26:27], s[22:23], v[250:251]
	s_wait_dscnt 0x1
	v_add_f64_e32 v[2:3], v[2:3], v[246:247]
	s_wait_dscnt 0x0
	v_add_f64_e32 v[6:7], v[6:7], v[48:49]
	v_add_f64_e32 v[4:5], v[4:5], v[44:45]
	;; [unrolled: 1-line block ×3, first 2 shown]
	v_fma_f64 v[236:237], v[14:15], s[14:15], v[234:235]
	v_fma_f64 v[234:235], v[238:239], s[12:13], -v[230:231]
	v_fma_f64 v[70:71], v[70:71], s[26:27], -v[32:33]
	v_fma_f64 v[14:15], v[14:15], s[14:15], v[26:27]
	v_fma_f64 v[62:63], v[246:247], s[16:17], v[2:3]
	;; [unrolled: 1-line block ×6, first 2 shown]
	v_add_f64_e32 v[242:243], v[10:11], v[62:63]
	v_add_f64_e32 v[70:71], v[70:71], v[62:63]
	;; [unrolled: 1-line block ×3, first 2 shown]
	s_delay_alu instid0(VALU_DEP_3)
	v_add_f64_e64 v[10:11], v[242:243], -v[234:235]
	v_add_f64_e32 v[234:235], v[234:235], v[242:243]
	v_add_f64_e64 v[242:243], v[248:249], -v[252:253]
	v_add_f64_e32 v[238:239], v[30:31], v[70:71]
	v_add_f64_e32 v[12:13], v[236:237], v[246:247]
	v_add_f64_e64 v[236:237], v[246:247], -v[236:237]
	s_delay_alu instid0(VALU_DEP_4) | instskip(SKIP_1) | instid1(VALU_DEP_2)
	v_mul_f64_e32 v[246:247], s[24:25], v[242:243]
	v_add_f64_e64 v[242:243], v[70:71], -v[30:31]
	v_fma_f64 v[78:79], v[78:79], s[26:27], -v[246:247]
	v_fma_f64 v[30:31], v[76:77], s[2:3], v[246:247]
	s_delay_alu instid0(VALU_DEP_2) | instskip(NEXT) | instid1(VALU_DEP_1)
	v_add_f64_e32 v[78:79], v[78:79], v[44:45]
	v_add_f64_e64 v[240:241], v[78:79], -v[28:29]
	v_add_f64_e32 v[244:245], v[28:29], v[78:79]
	v_fma_f64 v[28:29], v[68:69], s[2:3], v[32:33]
	v_add_f64_e64 v[32:33], v[36:37], -v[224:225]
	s_delay_alu instid0(VALU_DEP_2)
	v_add_f64_e32 v[26:27], v[28:29], v[62:63]
	v_add_f64_e32 v[28:29], v[30:31], v[44:45]
	v_add_f64_e64 v[30:31], v[42:43], -v[232:233]
	v_add_f64_e64 v[42:43], v[18:19], -v[16:17]
	;; [unrolled: 1-line block ×7, first 2 shown]
	v_add_f64_e32 v[246:247], v[24:25], v[26:27]
	v_add_f64_e64 v[248:249], v[28:29], -v[14:15]
	v_add_f64_e64 v[250:251], v[26:27], -v[24:25]
	v_add_f64_e32 v[252:253], v[14:15], v[28:29]
	v_add_f64_e64 v[14:15], v[38:39], -v[226:227]
	v_add_f64_e64 v[24:25], v[40:41], -v[254:255]
	;; [unrolled: 1-line block ×4, first 2 shown]
	v_mul_f64_e32 v[60:61], s[2:3], v[42:43]
	v_mul_f64_e32 v[18:19], s[24:25], v[18:19]
	;; [unrolled: 1-line block ×3, first 2 shown]
	v_add_f64_e64 v[34:35], v[24:25], -v[14:15]
	v_add_f64_e64 v[36:37], v[14:15], -v[26:27]
	v_add_f64_e32 v[14:15], v[24:25], v[14:15]
	v_add_f64_e64 v[40:41], v[28:29], -v[32:33]
	v_add_f64_e64 v[38:39], v[30:31], -v[28:29]
	v_add_f64_e32 v[28:29], v[30:31], v[28:29]
	v_add_f64_e64 v[50:51], v[26:27], -v[24:25]
	v_add_f64_e64 v[30:31], v[32:33], -v[30:31]
	v_fma_f64 v[60:61], v[16:17], s[18:19], -v[60:61]
	v_fma_f64 v[16:17], v[16:17], s[26:27], -v[18:19]
	;; [unrolled: 1-line block ×3, first 2 shown]
	v_fma_f64 v[18:19], v[42:43], s[2:3], v[18:19]
	v_mul_f64_e32 v[34:35], s[20:21], v[34:35]
	v_mul_f64_e32 v[24:25], s[12:13], v[36:37]
	v_add_f64_e32 v[14:15], v[14:15], v[26:27]
	v_mul_f64_e32 v[26:27], s[12:13], v[40:41]
	v_mul_f64_e32 v[38:39], s[20:21], v[38:39]
	v_add_f64_e32 v[28:29], v[28:29], v[32:33]
	v_mul_f64_e32 v[32:33], s[24:25], v[46:47]
	v_add_f64_e32 v[60:61], v[60:61], v[48:49]
	v_add_f64_e32 v[16:17], v[16:17], v[48:49]
	;; [unrolled: 1-line block ×4, first 2 shown]
	v_fma_f64 v[68:69], v[36:37], s[12:13], -v[34:35]
	v_fma_f64 v[24:25], v[50:51], s[28:29], -v[24:25]
	;; [unrolled: 1-line block ×4, first 2 shown]
	v_fma_f64 v[30:31], v[30:31], s[22:23], v[38:39]
	v_fma_f64 v[36:37], v[52:53], s[26:27], -v[32:33]
	v_fma_f64 v[32:33], v[44:45], s[2:3], v[32:33]
	s_add_nc_u64 s[2:3], s[8:9], 0x6e40
	v_fma_f64 v[68:69], v[14:15], s[14:15], v[68:69]
	v_fma_f64 v[40:41], v[14:15], s[14:15], v[24:25]
	;; [unrolled: 1-line block ×4, first 2 shown]
	v_add_f64_e32 v[26:27], v[36:37], v[0:1]
	v_add_f64_e32 v[0:1], v[32:33], v[0:1]
	;; [unrolled: 1-line block ×3, first 2 shown]
	v_add_f64_e64 v[226:227], v[62:63], -v[68:69]
	v_add_f64_e32 v[228:229], v[24:25], v[16:17]
	v_add_f64_e64 v[24:25], v[16:17], -v[24:25]
	v_fma_f64 v[16:17], v[50:51], s[22:23], v[34:35]
	v_add_f64_e64 v[230:231], v[26:27], -v[40:41]
	v_add_f64_e64 v[220:221], v[60:61], -v[70:71]
	v_add_f64_e32 v[224:225], v[70:71], v[60:61]
	v_add_f64_e32 v[26:27], v[40:41], v[26:27]
	v_fma_f64 v[14:15], v[14:15], s[14:15], v[16:17]
	v_fma_f64 v[16:17], v[28:29], s[14:15], v[30:31]
	s_delay_alu instid0(VALU_DEP_2) | instskip(NEXT) | instid1(VALU_DEP_2)
	v_add_f64_e64 v[30:31], v[0:1], -v[14:15]
	v_add_f64_e32 v[28:29], v[16:17], v[18:19]
	v_add_f64_e64 v[32:33], v[18:19], -v[16:17]
	v_add_f64_e32 v[34:35], v[14:15], v[0:1]
	ds_store_b128 v20, v[2:5]
	ds_store_b128 v20, v[6:9] offset:2016
	ds_store_b128 v20, v[246:249] offset:4032
	;; [unrolled: 1-line block ×13, first 2 shown]
	global_wb scope:SCOPE_SE
	s_wait_dscnt 0x0
	s_barrier_signal -1
	s_barrier_wait -1
	global_inv scope:SCOPE_SE
	scratch_load_b64 v[0:1], off, off offset:352 th:TH_LOAD_LU ; 8-byte Folded Reload
	ds_load_b128 v[4:7], v20
	ds_load_b128 v[24:27], v20 offset:2016
	v_lshlrev_b32_e32 v16, 4, v21
	ds_load_b128 v[28:31], v20 offset:16128
	ds_load_b128 v[220:223], v20 offset:18144
	ds_load_b128 v[32:35], v20 offset:4032
	ds_load_b128 v[224:227], v20 offset:6048
	ds_load_b128 v[228:231], v20 offset:20160
	ds_load_b128 v[238:241], v20 offset:22176
	ds_load_b128 v[234:237], v20 offset:8064
	ds_load_b128 v[242:245], v20 offset:10080
	ds_load_b128 v[246:249], v20 offset:24192
	ds_load_b128 v[36:39], v20 offset:26208
	ds_load_b128 v[250:253], v20 offset:12096
	s_wait_loadcnt 0x0
	global_load_b128 v[0:3], v[0:1], off offset:28224
	s_wait_loadcnt_dscnt 0xc
	v_mul_f64_e32 v[8:9], v[6:7], v[2:3]
	v_mul_f64_e32 v[10:11], v[4:5], v[2:3]
	s_delay_alu instid0(VALU_DEP_2) | instskip(NEXT) | instid1(VALU_DEP_2)
	v_fma_f64 v[2:3], v[4:5], v[0:1], -v[8:9]
	v_fma_f64 v[4:5], v[6:7], v[0:1], v[10:11]
	global_load_b128 v[6:9], v16, s[2:3] offset:14112
	ds_load_b128 v[10:13], v20 offset:14112
	s_wait_loadcnt_dscnt 0x0
	v_mul_f64_e32 v[0:1], v[12:13], v[8:9]
	v_mul_f64_e32 v[14:15], v[10:11], v[8:9]
	s_delay_alu instid0(VALU_DEP_2) | instskip(NEXT) | instid1(VALU_DEP_2)
	v_fma_f64 v[8:9], v[10:11], v[6:7], -v[0:1]
	v_fma_f64 v[10:11], v[12:13], v[6:7], v[14:15]
	global_load_b128 v[12:15], v16, s[2:3] offset:2016
	s_wait_loadcnt 0x0
	v_mul_f64_e32 v[0:1], v[26:27], v[14:15]
	v_mul_f64_e32 v[6:7], v[24:25], v[14:15]
	s_delay_alu instid0(VALU_DEP_2) | instskip(NEXT) | instid1(VALU_DEP_2)
	v_fma_f64 v[24:25], v[24:25], v[12:13], -v[0:1]
	v_fma_f64 v[26:27], v[26:27], v[12:13], v[6:7]
	global_load_b128 v[12:15], v16, s[2:3] offset:16128
	s_wait_loadcnt 0x0
	;; [unrolled: 7-line block ×11, first 2 shown]
	v_mul_f64_e32 v[0:1], v[252:253], v[14:15]
	v_mul_f64_e32 v[6:7], v[250:251], v[14:15]
	s_delay_alu instid0(VALU_DEP_2) | instskip(NEXT) | instid1(VALU_DEP_2)
	v_fma_f64 v[250:251], v[250:251], v[12:13], -v[0:1]
	v_fma_f64 v[252:253], v[252:253], v[12:13], v[6:7]
	global_load_b128 v[12:15], v16, s[2:3] offset:26208
	v_lshlrev_b32_e32 v16, 5, v21
	s_wait_loadcnt 0x0
	v_mul_f64_e32 v[0:1], v[38:39], v[14:15]
	v_mul_f64_e32 v[6:7], v[36:37], v[14:15]
	s_delay_alu instid0(VALU_DEP_2) | instskip(NEXT) | instid1(VALU_DEP_2)
	v_fma_f64 v[36:37], v[36:37], v[12:13], -v[0:1]
	v_fma_f64 v[38:39], v[38:39], v[12:13], v[6:7]
	ds_store_b128 v20, v[2:5]
	ds_store_b128 v20, v[24:27] offset:2016
	ds_store_b128 v20, v[28:31] offset:16128
	;; [unrolled: 1-line block ×13, first 2 shown]
	global_wb scope:SCOPE_SE
	s_wait_dscnt 0x0
	s_barrier_signal -1
	s_barrier_wait -1
	global_inv scope:SCOPE_SE
	ds_load_b128 v[0:3], v20 offset:14112
	ds_load_b128 v[4:7], v20
	ds_load_b128 v[8:11], v20 offset:2016
	ds_load_b128 v[12:15], v20 offset:16128
	;; [unrolled: 1-line block ×12, first 2 shown]
	global_wb scope:SCOPE_SE
	s_wait_dscnt 0x0
	s_barrier_signal -1
	s_barrier_wait -1
	global_inv scope:SCOPE_SE
	v_add_f64_e64 v[0:1], v[4:5], -v[0:1]
	v_add_f64_e64 v[2:3], v[6:7], -v[2:3]
	s_delay_alu instid0(VALU_DEP_2) | instskip(NEXT) | instid1(VALU_DEP_2)
	v_fma_f64 v[4:5], v[4:5], 2.0, -v[0:1]
	v_fma_f64 v[6:7], v[6:7], 2.0, -v[2:3]
	ds_store_b128 v16, v[0:3] offset:16
	ds_store_b128 v16, v[4:7]
	v_add_f64_e64 v[0:1], v[8:9], -v[12:13]
	v_add_f64_e64 v[2:3], v[10:11], -v[14:15]
	s_delay_alu instid0(VALU_DEP_2)
	v_fma_f64 v[4:5], v[8:9], 2.0, -v[0:1]
	scratch_load_b32 v8, off, off offset:328 th:TH_LOAD_LU ; 4-byte Folded Reload
	v_fma_f64 v[6:7], v[10:11], 2.0, -v[2:3]
	s_wait_loadcnt 0x0
	ds_store_b128 v8, v[4:7]
	ds_store_b128 v8, v[0:3] offset:16
	scratch_load_b32 v8, off, off offset:324 th:TH_LOAD_LU ; 4-byte Folded Reload
	v_add_f64_e64 v[0:1], v[28:29], -v[24:25]
	v_add_f64_e64 v[2:3], v[30:31], -v[26:27]
	s_delay_alu instid0(VALU_DEP_2) | instskip(NEXT) | instid1(VALU_DEP_2)
	v_fma_f64 v[4:5], v[28:29], 2.0, -v[0:1]
	v_fma_f64 v[6:7], v[30:31], 2.0, -v[2:3]
	s_wait_loadcnt 0x0
	ds_store_b128 v8, v[4:7]
	ds_store_b128 v8, v[0:3] offset:16
	scratch_load_b32 v8, off, off offset:320 th:TH_LOAD_LU ; 4-byte Folded Reload
	v_add_f64_e64 v[0:1], v[32:33], -v[36:37]
	v_add_f64_e64 v[2:3], v[34:35], -v[38:39]
	s_delay_alu instid0(VALU_DEP_2) | instskip(NEXT) | instid1(VALU_DEP_2)
	v_fma_f64 v[4:5], v[32:33], 2.0, -v[0:1]
	;; [unrolled: 9-line block ×5, first 2 shown]
	v_fma_f64 v[6:7], v[240:241], 2.0, -v[2:3]
	s_wait_loadcnt 0x0
	ds_store_b128 v8, v[4:7]
	ds_store_b128 v8, v[0:3] offset:16
	global_wb scope:SCOPE_SE
	s_wait_dscnt 0x0
	s_barrier_signal -1
	s_barrier_wait -1
	global_inv scope:SCOPE_SE
	ds_load_b128 v[0:3], v20 offset:14112
	s_wait_dscnt 0x0
	v_mul_f64_e32 v[4:5], v[58:59], v[2:3]
	s_delay_alu instid0(VALU_DEP_1) | instskip(SKIP_1) | instid1(VALU_DEP_1)
	v_fma_f64 v[4:5], v[56:57], v[0:1], v[4:5]
	v_mul_f64_e32 v[0:1], v[58:59], v[0:1]
	v_fma_f64 v[6:7], v[56:57], v[2:3], -v[0:1]
	ds_load_b128 v[0:3], v20 offset:16128
	s_wait_dscnt 0x0
	v_mul_f64_e32 v[8:9], v[58:59], v[2:3]
	s_delay_alu instid0(VALU_DEP_1) | instskip(SKIP_1) | instid1(VALU_DEP_1)
	v_fma_f64 v[16:17], v[56:57], v[0:1], v[8:9]
	v_mul_f64_e32 v[0:1], v[58:59], v[0:1]
	v_fma_f64 v[18:19], v[56:57], v[2:3], -v[0:1]
	;; [unrolled: 7-line block ×7, first 2 shown]
	ds_load_b128 v[0:3], v20
	ds_load_b128 v[8:11], v20 offset:2016
	ds_load_b128 v[12:15], v20 offset:12096
	;; [unrolled: 1-line block ×6, first 2 shown]
	global_wb scope:SCOPE_SE
	s_wait_dscnt 0x0
	s_barrier_signal -1
	s_barrier_wait -1
	global_inv scope:SCOPE_SE
	scratch_load_b32 v58, off, off offset:252 th:TH_LOAD_LU ; 4-byte Folded Reload
	v_add_f64_e64 v[248:249], v[12:13], -v[60:61]
	v_add_f64_e64 v[4:5], v[0:1], -v[4:5]
	;; [unrolled: 1-line block ×4, first 2 shown]
	s_delay_alu instid0(VALU_DEP_4) | instskip(NEXT) | instid1(VALU_DEP_4)
	v_fma_f64 v[56:57], v[12:13], 2.0, -v[248:249]
	v_fma_f64 v[0:1], v[0:1], 2.0, -v[4:5]
	s_delay_alu instid0(VALU_DEP_4)
	v_fma_f64 v[2:3], v[2:3], 2.0, -v[6:7]
	s_wait_loadcnt 0x0
	ds_store_b128 v58, v[4:7] offset:32
	ds_store_b128 v58, v[0:3]
	v_add_f64_e64 v[0:1], v[8:9], -v[16:17]
	v_add_f64_e64 v[2:3], v[10:11], -v[18:19]
	v_fma_f64 v[58:59], v[14:15], 2.0, -v[250:251]
	s_delay_alu instid0(VALU_DEP_3)
	v_fma_f64 v[4:5], v[8:9], 2.0, -v[0:1]
	scratch_load_b32 v8, off, off offset:296 th:TH_LOAD_LU ; 4-byte Folded Reload
	v_fma_f64 v[6:7], v[10:11], 2.0, -v[2:3]
	s_wait_loadcnt 0x0
	ds_store_b128 v8, v[4:7]
	ds_store_b128 v8, v[0:3] offset:32
	scratch_load_b32 v8, off, off offset:292 th:TH_LOAD_LU ; 4-byte Folded Reload
	v_add_f64_e64 v[0:1], v[24:25], -v[40:41]
	v_add_f64_e64 v[2:3], v[26:27], -v[42:43]
	s_delay_alu instid0(VALU_DEP_2) | instskip(NEXT) | instid1(VALU_DEP_2)
	v_fma_f64 v[4:5], v[24:25], 2.0, -v[0:1]
	v_fma_f64 v[6:7], v[26:27], 2.0, -v[2:3]
	s_wait_loadcnt 0x0
	ds_store_b128 v8, v[4:7]
	ds_store_b128 v8, v[0:3] offset:32
	scratch_load_b32 v8, off, off offset:284 th:TH_LOAD_LU ; 4-byte Folded Reload
	v_add_f64_e64 v[0:1], v[28:29], -v[44:45]
	v_add_f64_e64 v[2:3], v[30:31], -v[46:47]
	s_delay_alu instid0(VALU_DEP_2) | instskip(NEXT) | instid1(VALU_DEP_2)
	v_fma_f64 v[4:5], v[28:29], 2.0, -v[0:1]
	;; [unrolled: 9-line block ×4, first 2 shown]
	v_fma_f64 v[6:7], v[38:39], 2.0, -v[2:3]
	s_wait_loadcnt 0x0
	ds_store_b128 v8, v[4:7]
	ds_store_b128 v8, v[0:3] offset:32
	scratch_load_b32 v0, off, off offset:248 th:TH_LOAD_LU ; 4-byte Folded Reload
	s_wait_loadcnt 0x0
	ds_store_b128 v0, v[56:59]
	ds_store_b128 v0, v[248:251] offset:32
	global_wb scope:SCOPE_SE
	s_wait_dscnt 0x0
	s_barrier_signal -1
	s_barrier_wait -1
	global_inv scope:SCOPE_SE
	ds_load_b128 v[232:235], v20
	ds_load_b128 v[228:231], v20 offset:2016
	ds_load_b128 v[12:15], v20 offset:9408
	;; [unrolled: 1-line block ×11, first 2 shown]
	s_and_saveexec_b32 s2, vcc_lo
	s_cbranch_execz .LBB0_11
; %bb.10:
	ds_load_b128 v[56:59], v20 offset:8064
	ds_load_b128 v[248:251], v20 offset:17472
	;; [unrolled: 1-line block ×3, first 2 shown]
.LBB0_11:
	s_wait_alu 0xfffe
	s_or_b32 exec_lo, exec_lo, s2
	s_wait_dscnt 0x9
	v_mul_f64_e32 v[16:17], v[74:75], v[14:15]
	scratch_load_b128 v[46:49], off, off offset:232 th:TH_LOAD_LU ; 16-byte Folded Reload
	s_mov_b32 s2, 0xe8584caa
	s_mov_b32 s3, 0xbfebb67a
	;; [unrolled: 1-line block ×3, first 2 shown]
	s_wait_alu 0xfffe
	s_mov_b32 s8, s2
	v_fma_f64 v[16:17], v[72:73], v[12:13], v[16:17]
	v_mul_f64_e32 v[12:13], v[74:75], v[12:13]
	s_delay_alu instid0(VALU_DEP_1) | instskip(SKIP_2) | instid1(VALU_DEP_1)
	v_fma_f64 v[12:13], v[72:73], v[14:15], -v[12:13]
	s_wait_dscnt 0x3
	v_mul_f64_e32 v[14:15], v[74:75], v[10:11]
	v_fma_f64 v[14:15], v[72:73], v[8:9], v[14:15]
	v_mul_f64_e32 v[8:9], v[74:75], v[8:9]
	s_delay_alu instid0(VALU_DEP_1) | instskip(SKIP_2) | instid1(VALU_DEP_1)
	v_fma_f64 v[18:19], v[72:73], v[10:11], -v[8:9]
	s_wait_dscnt 0x1
	v_mul_f64_e32 v[8:9], v[74:75], v[250:251]
	v_fma_f64 v[28:29], v[72:73], v[248:249], v[8:9]
	v_mul_f64_e32 v[8:9], v[74:75], v[248:249]
	s_delay_alu instid0(VALU_DEP_1) | instskip(SKIP_1) | instid1(VALU_DEP_1)
	v_fma_f64 v[30:31], v[72:73], v[250:251], -v[8:9]
	v_mul_f64_e32 v[8:9], v[66:67], v[2:3]
	v_fma_f64 v[8:9], v[64:65], v[0:1], v[8:9]
	v_mul_f64_e32 v[0:1], v[66:67], v[0:1]
	s_delay_alu instid0(VALU_DEP_1) | instskip(SKIP_1) | instid1(VALU_DEP_1)
	v_fma_f64 v[0:1], v[64:65], v[2:3], -v[0:1]
	v_mul_f64_e32 v[2:3], v[66:67], v[6:7]
	v_fma_f64 v[24:25], v[64:65], v[4:5], v[2:3]
	v_mul_f64_e32 v[2:3], v[66:67], v[4:5]
	scratch_load_b64 v[4:5], off, off offset:272 th:TH_LOAD_LU ; 8-byte Folded Reload
	v_fma_f64 v[26:27], v[64:65], v[6:7], -v[2:3]
	scratch_load_b64 v[6:7], off, off offset:260 th:TH_LOAD_LU ; 8-byte Folded Reload
	s_wait_dscnt 0x0
	v_mul_f64_e32 v[2:3], v[66:67], v[218:219]
	global_wb scope:SCOPE_SE
	s_wait_loadcnt 0x0
	s_barrier_signal -1
	s_barrier_wait -1
	global_inv scope:SCOPE_SE
	v_fma_f64 v[32:33], v[64:65], v[216:217], v[2:3]
	v_mul_f64_e32 v[2:3], v[66:67], v[216:217]
	s_delay_alu instid0(VALU_DEP_1) | instskip(SKIP_2) | instid1(VALU_DEP_2)
	v_fma_f64 v[34:35], v[64:65], v[218:219], -v[2:3]
	v_mul_f64_e32 v[2:3], v[4:5], v[254:255]
	v_mul_f64_e32 v[4:5], v[4:5], v[252:253]
	v_fma_f64 v[36:37], v[84:85], v[252:253], v[2:3]
	v_mul_f64_e32 v[2:3], v[86:87], v[242:243]
	s_delay_alu instid0(VALU_DEP_3) | instskip(SKIP_1) | instid1(VALU_DEP_3)
	v_fma_f64 v[38:39], v[84:85], v[254:255], -v[4:5]
	v_mul_f64_e32 v[4:5], v[86:87], v[240:241]
	v_fma_f64 v[40:41], v[82:83], v[240:241], v[2:3]
	v_mul_f64_e32 v[2:3], v[80:81], v[246:247]
	s_delay_alu instid0(VALU_DEP_3) | instskip(SKIP_1) | instid1(VALU_DEP_3)
	v_fma_f64 v[42:43], v[82:83], v[242:243], -v[4:5]
	;; [unrolled: 5-line block ×3, first 2 shown]
	v_mul_f64_e32 v[4:5], v[48:49], v[236:237]
	v_fma_f64 v[48:49], v[6:7], v[236:237], v[2:3]
	v_add_f64_e32 v[2:3], v[16:17], v[8:9]
	s_delay_alu instid0(VALU_DEP_3) | instskip(SKIP_2) | instid1(VALU_DEP_4)
	v_fma_f64 v[50:51], v[6:7], v[238:239], -v[4:5]
	v_add_f64_e32 v[4:5], v[232:233], v[16:17]
	v_add_f64_e64 v[16:17], v[16:17], -v[8:9]
	v_fma_f64 v[6:7], v[2:3], -0.5, v[232:233]
	v_add_f64_e32 v[2:3], v[12:13], v[0:1]
	s_delay_alu instid0(VALU_DEP_1) | instskip(SKIP_2) | instid1(VALU_DEP_2)
	v_fma_f64 v[10:11], v[2:3], -0.5, v[234:235]
	v_add_f64_e32 v[2:3], v[234:235], v[12:13]
	v_add_f64_e64 v[12:13], v[12:13], -v[0:1]
	v_add_f64_e32 v[2:3], v[2:3], v[0:1]
	v_add_f64_e32 v[0:1], v[4:5], v[8:9]
	s_delay_alu instid0(VALU_DEP_3)
	v_fma_f64 v[4:5], v[12:13], s[2:3], v[6:7]
	s_wait_alu 0xfffe
	v_fma_f64 v[8:9], v[12:13], s[8:9], v[6:7]
	scratch_load_b32 v12, off, off offset:308 th:TH_LOAD_LU ; 4-byte Folded Reload
	v_fma_f64 v[6:7], v[16:17], s[8:9], v[10:11]
	v_fma_f64 v[10:11], v[16:17], s[2:3], v[10:11]
	v_add_f64_e32 v[16:17], v[220:221], v[44:45]
	s_wait_loadcnt 0x0
	ds_store_b128 v12, v[0:3]
	ds_store_b128 v12, v[4:7] offset:64
	ds_store_b128 v12, v[8:11] offset:128
	v_add_f64_e32 v[0:1], v[48:49], v[40:41]
	v_add_f64_e32 v[4:5], v[228:229], v[48:49]
	v_add_f64_e64 v[8:9], v[50:51], -v[42:43]
	v_add_f64_e64 v[12:13], v[48:49], -v[40:41]
	s_delay_alu instid0(VALU_DEP_4) | instskip(SKIP_1) | instid1(VALU_DEP_1)
	v_fma_f64 v[6:7], v[0:1], -0.5, v[228:229]
	v_add_f64_e32 v[0:1], v[50:51], v[42:43]
	v_fma_f64 v[10:11], v[0:1], -0.5, v[230:231]
	v_add_f64_e32 v[0:1], v[230:231], v[50:51]
	s_delay_alu instid0(VALU_DEP_1)
	v_add_f64_e32 v[2:3], v[0:1], v[42:43]
	v_add_f64_e32 v[0:1], v[4:5], v[40:41]
	v_fma_f64 v[4:5], v[8:9], s[2:3], v[6:7]
	v_fma_f64 v[8:9], v[8:9], s[8:9], v[6:7]
	;; [unrolled: 1-line block ×4, first 2 shown]
	scratch_load_b32 v12, off, off offset:300 th:TH_LOAD_LU ; 4-byte Folded Reload
	v_add_f64_e32 v[42:43], v[56:57], v[28:29]
	v_add_f64_e32 v[40:41], v[58:59], v[30:31]
	s_wait_loadcnt 0x0
	ds_store_b128 v12, v[0:3]
	ds_store_b128 v12, v[4:7] offset:64
	ds_store_b128 v12, v[8:11] offset:128
	v_add_f64_e32 v[0:1], v[14:15], v[24:25]
	v_add_f64_e32 v[4:5], v[224:225], v[14:15]
	v_add_f64_e64 v[8:9], v[18:19], -v[26:27]
	v_add_f64_e64 v[12:13], v[14:15], -v[24:25]
	s_delay_alu instid0(VALU_DEP_4) | instskip(SKIP_1) | instid1(VALU_DEP_1)
	v_fma_f64 v[6:7], v[0:1], -0.5, v[224:225]
	v_add_f64_e32 v[0:1], v[18:19], v[26:27]
	v_fma_f64 v[10:11], v[0:1], -0.5, v[226:227]
	v_add_f64_e32 v[0:1], v[226:227], v[18:19]
	s_delay_alu instid0(VALU_DEP_1)
	v_add_f64_e32 v[2:3], v[0:1], v[26:27]
	v_add_f64_e32 v[0:1], v[4:5], v[24:25]
	v_fma_f64 v[4:5], v[8:9], s[2:3], v[6:7]
	v_fma_f64 v[8:9], v[8:9], s[8:9], v[6:7]
	;; [unrolled: 1-line block ×4, first 2 shown]
	v_add_f64_e32 v[12:13], v[44:45], v[36:37]
	v_add_f64_e64 v[24:25], v[46:47], -v[38:39]
	s_delay_alu instid0(VALU_DEP_2) | instskip(SKIP_1) | instid1(VALU_DEP_1)
	v_fma_f64 v[18:19], v[12:13], -0.5, v[220:221]
	v_add_f64_e32 v[12:13], v[46:47], v[38:39]
	v_fma_f64 v[26:27], v[12:13], -0.5, v[222:223]
	v_add_f64_e32 v[12:13], v[222:223], v[46:47]
	s_delay_alu instid0(VALU_DEP_1)
	v_add_f64_e32 v[14:15], v[12:13], v[38:39]
	v_add_f64_e32 v[12:13], v[16:17], v[36:37]
	v_add_f64_e64 v[36:37], v[44:45], -v[36:37]
	v_add_f64_e32 v[38:39], v[30:31], v[34:35]
	v_fma_f64 v[16:17], v[24:25], s[2:3], v[18:19]
	v_fma_f64 v[24:25], v[24:25], s[8:9], v[18:19]
	v_add_f64_e64 v[30:31], v[30:31], -v[34:35]
	v_fma_f64 v[18:19], v[36:37], s[8:9], v[26:27]
	v_fma_f64 v[26:27], v[36:37], s[2:3], v[26:27]
	v_add_f64_e32 v[36:37], v[28:29], v[32:33]
	v_fma_f64 v[38:39], v[38:39], -0.5, v[58:59]
	v_add_f64_e64 v[28:29], v[28:29], -v[32:33]
	v_add_f64_e32 v[58:59], v[40:41], v[34:35]
	s_delay_alu instid0(VALU_DEP_4) | instskip(SKIP_1) | instid1(VALU_DEP_4)
	v_fma_f64 v[36:37], v[36:37], -0.5, v[56:57]
	v_add_f64_e32 v[56:57], v[42:43], v[32:33]
	v_fma_f64 v[62:63], v[28:29], s[8:9], v[38:39]
	v_fma_f64 v[66:67], v[28:29], s[2:3], v[38:39]
	scratch_load_b32 v28, off, off offset:288 th:TH_LOAD_LU ; 4-byte Folded Reload
	s_wait_loadcnt 0x0
	ds_store_b128 v28, v[0:3]
	ds_store_b128 v28, v[4:7] offset:64
	ds_store_b128 v28, v[8:11] offset:128
	scratch_load_b32 v0, off, off offset:280 th:TH_LOAD_LU ; 4-byte Folded Reload
	v_fma_f64 v[60:61], v[30:31], s[2:3], v[36:37]
	v_fma_f64 v[64:65], v[30:31], s[8:9], v[36:37]
	s_wait_loadcnt 0x0
	ds_store_b128 v0, v[12:15]
	ds_store_b128 v0, v[16:19] offset:64
	ds_store_b128 v0, v[24:27] offset:128
	s_and_saveexec_b32 s2, vcc_lo
	s_cbranch_execz .LBB0_13
; %bb.12:
	scratch_load_b32 v0, off, off offset:392 th:TH_LOAD_LU ; 4-byte Folded Reload
	v_and_b32_e32 v1, 3, v21
	s_wait_loadcnt 0x0
	v_mul_u32_u24_e32 v0, 12, v0
	s_delay_alu instid0(VALU_DEP_1) | instskip(NEXT) | instid1(VALU_DEP_1)
	v_or_b32_e32 v0, v0, v1
	v_lshlrev_b32_e32 v0, 4, v0
	ds_store_b128 v0, v[56:59]
	ds_store_b128 v0, v[60:63] offset:64
	ds_store_b128 v0, v[64:67] offset:128
.LBB0_13:
	s_wait_alu 0xfffe
	s_or_b32 exec_lo, exec_lo, s2
	global_wb scope:SCOPE_SE
	s_wait_dscnt 0x0
	s_barrier_signal -1
	s_barrier_wait -1
	global_inv scope:SCOPE_SE
	ds_load_b128 v[216:219], v20
	ds_load_b128 v[84:87], v20 offset:2016
	ds_load_b128 v[232:235], v20 offset:9408
	;; [unrolled: 1-line block ×11, first 2 shown]
	s_and_saveexec_b32 s2, vcc_lo
	s_cbranch_execz .LBB0_15
; %bb.14:
	ds_load_b128 v[56:59], v20 offset:8064
	ds_load_b128 v[60:63], v20 offset:17472
	;; [unrolled: 1-line block ×3, first 2 shown]
.LBB0_15:
	s_wait_alu 0xfffe
	s_or_b32 exec_lo, exec_lo, s2
	s_wait_dscnt 0x8
	v_mul_f64_e32 v[28:29], v[98:99], v[14:15]
	v_mul_f64_e32 v[16:17], v[90:91], v[234:235]
	s_wait_dscnt 0x7
	v_mul_f64_e32 v[24:25], v[94:95], v[230:231]
	v_mul_f64_e32 v[18:19], v[90:91], v[232:233]
	;; [unrolled: 1-line block ×3, first 2 shown]
	s_mov_b32 s2, 0xe8584caa
	s_mov_b32 s3, 0xbfebb67a
	s_wait_alu 0xfffe
	s_mov_b32 s8, s2
	global_wb scope:SCOPE_SE
	s_wait_dscnt 0x0
	s_barrier_signal -1
	s_barrier_wait -1
	global_inv scope:SCOPE_SE
	v_fma_f64 v[28:29], v[96:97], v[12:13], v[28:29]
	v_mul_f64_e32 v[12:13], v[98:99], v[12:13]
	v_fma_f64 v[16:17], v[88:89], v[232:233], v[16:17]
	v_fma_f64 v[24:25], v[92:93], v[228:229], v[24:25]
	v_fma_f64 v[18:19], v[88:89], v[234:235], -v[18:19]
	v_fma_f64 v[26:27], v[92:93], v[230:231], -v[26:27]
	;; [unrolled: 1-line block ×3, first 2 shown]
	v_mul_f64_e32 v[14:15], v[102:103], v[10:11]
	s_delay_alu instid0(VALU_DEP_1) | instskip(SKIP_1) | instid1(VALU_DEP_1)
	v_fma_f64 v[14:15], v[100:101], v[8:9], v[14:15]
	v_mul_f64_e32 v[8:9], v[102:103], v[8:9]
	v_fma_f64 v[30:31], v[100:101], v[10:11], -v[8:9]
	v_mul_f64_e32 v[8:9], v[106:107], v[226:227]
	s_delay_alu instid0(VALU_DEP_1) | instskip(SKIP_1) | instid1(VALU_DEP_1)
	v_fma_f64 v[32:33], v[104:105], v[224:225], v[8:9]
	v_mul_f64_e32 v[8:9], v[106:107], v[224:225]
	v_fma_f64 v[34:35], v[104:105], v[226:227], -v[8:9]
	;; [unrolled: 5-line block ×3, first 2 shown]
	v_mul_f64_e32 v[8:9], v[114:115], v[6:7]
	s_delay_alu instid0(VALU_DEP_1) | instskip(SKIP_2) | instid1(VALU_DEP_2)
	v_fma_f64 v[40:41], v[112:113], v[4:5], v[8:9]
	v_mul_f64_e32 v[4:5], v[114:115], v[4:5]
	v_add_f64_e64 v[8:9], v[18:19], -v[26:27]
	v_fma_f64 v[42:43], v[112:113], v[6:7], -v[4:5]
	v_mul_f64_e32 v[4:5], v[118:119], v[2:3]
	s_delay_alu instid0(VALU_DEP_1) | instskip(SKIP_2) | instid1(VALU_DEP_2)
	v_fma_f64 v[44:45], v[116:117], v[0:1], v[4:5]
	v_mul_f64_e32 v[0:1], v[118:119], v[0:1]
	v_add_f64_e32 v[4:5], v[216:217], v[16:17]
	v_fma_f64 v[46:47], v[116:117], v[2:3], -v[0:1]
	v_add_f64_e32 v[0:1], v[16:17], v[24:25]
	v_add_f64_e64 v[16:17], v[16:17], -v[24:25]
	s_delay_alu instid0(VALU_DEP_2) | instskip(SKIP_1) | instid1(VALU_DEP_1)
	v_fma_f64 v[6:7], v[0:1], -0.5, v[216:217]
	v_add_f64_e32 v[0:1], v[18:19], v[26:27]
	v_fma_f64 v[10:11], v[0:1], -0.5, v[218:219]
	v_add_f64_e32 v[0:1], v[218:219], v[18:19]
	s_delay_alu instid0(VALU_DEP_1)
	v_add_f64_e32 v[2:3], v[0:1], v[26:27]
	v_add_f64_e32 v[0:1], v[4:5], v[24:25]
	v_fma_f64 v[4:5], v[8:9], s[2:3], v[6:7]
	s_wait_alu 0xfffe
	v_fma_f64 v[8:9], v[8:9], s[8:9], v[6:7]
	v_fma_f64 v[6:7], v[16:17], s[8:9], v[10:11]
	;; [unrolled: 1-line block ×3, first 2 shown]
	scratch_load_b32 v16, off, off offset:348 th:TH_LOAD_LU ; 4-byte Folded Reload
	v_add_f64_e64 v[24:25], v[34:35], -v[38:39]
	s_wait_loadcnt 0x0
	ds_store_b128 v16, v[0:3]
	ds_store_b128 v16, v[4:7] offset:192
	ds_store_b128 v16, v[8:11] offset:384
	v_add_f64_e32 v[0:1], v[28:29], v[14:15]
	v_add_f64_e32 v[4:5], v[84:85], v[28:29]
	v_add_f64_e64 v[8:9], v[12:13], -v[30:31]
	v_add_f64_e32 v[16:17], v[80:81], v[32:33]
	s_delay_alu instid0(VALU_DEP_4) | instskip(SKIP_1) | instid1(VALU_DEP_1)
	v_fma_f64 v[6:7], v[0:1], -0.5, v[84:85]
	v_add_f64_e32 v[0:1], v[12:13], v[30:31]
	v_fma_f64 v[10:11], v[0:1], -0.5, v[86:87]
	v_add_f64_e32 v[0:1], v[86:87], v[12:13]
	v_add_f64_e64 v[12:13], v[28:29], -v[14:15]
	v_add_f64_e64 v[28:29], v[32:33], -v[36:37]
	s_delay_alu instid0(VALU_DEP_3)
	v_add_f64_e32 v[2:3], v[0:1], v[30:31]
	v_add_f64_e32 v[0:1], v[4:5], v[14:15]
	v_fma_f64 v[4:5], v[8:9], s[2:3], v[6:7]
	v_fma_f64 v[8:9], v[8:9], s[8:9], v[6:7]
	;; [unrolled: 1-line block ×4, first 2 shown]
	v_add_f64_e32 v[12:13], v[32:33], v[36:37]
	v_add_f64_e32 v[32:33], v[72:73], v[40:41]
	s_delay_alu instid0(VALU_DEP_2) | instskip(SKIP_1) | instid1(VALU_DEP_1)
	v_fma_f64 v[18:19], v[12:13], -0.5, v[80:81]
	v_add_f64_e32 v[12:13], v[34:35], v[38:39]
	v_fma_f64 v[26:27], v[12:13], -0.5, v[82:83]
	v_add_f64_e32 v[12:13], v[82:83], v[34:35]
	s_delay_alu instid0(VALU_DEP_1)
	v_add_f64_e32 v[14:15], v[12:13], v[38:39]
	v_add_f64_e32 v[12:13], v[16:17], v[36:37]
	v_fma_f64 v[16:17], v[24:25], s[2:3], v[18:19]
	v_fma_f64 v[24:25], v[24:25], s[8:9], v[18:19]
	;; [unrolled: 1-line block ×4, first 2 shown]
	v_add_f64_e32 v[28:29], v[40:41], v[44:45]
	v_add_f64_e64 v[36:37], v[42:43], -v[46:47]
	v_add_f64_e64 v[40:41], v[40:41], -v[44:45]
	s_delay_alu instid0(VALU_DEP_3) | instskip(SKIP_1) | instid1(VALU_DEP_1)
	v_fma_f64 v[34:35], v[28:29], -0.5, v[72:73]
	v_add_f64_e32 v[28:29], v[42:43], v[46:47]
	v_fma_f64 v[38:39], v[28:29], -0.5, v[74:75]
	v_add_f64_e32 v[28:29], v[74:75], v[42:43]
	s_delay_alu instid0(VALU_DEP_1)
	v_add_f64_e32 v[30:31], v[28:29], v[46:47]
	v_add_f64_e32 v[28:29], v[32:33], v[44:45]
	v_fma_f64 v[32:33], v[36:37], s[2:3], v[34:35]
	v_fma_f64 v[36:37], v[36:37], s[8:9], v[34:35]
	;; [unrolled: 1-line block ×4, first 2 shown]
	scratch_load_b32 v40, off, off offset:344 th:TH_LOAD_LU ; 4-byte Folded Reload
	s_wait_loadcnt 0x0
	ds_store_b128 v40, v[0:3]
	ds_store_b128 v40, v[4:7] offset:192
	ds_store_b128 v40, v[8:11] offset:384
	scratch_load_b32 v0, off, off offset:340 th:TH_LOAD_LU ; 4-byte Folded Reload
	s_wait_loadcnt 0x0
	ds_store_b128 v0, v[12:15]
	ds_store_b128 v0, v[16:19] offset:192
	ds_store_b128 v0, v[24:27] offset:384
	;; [unrolled: 5-line block ×3, first 2 shown]
	s_and_saveexec_b32 s10, vcc_lo
	s_cbranch_execz .LBB0_17
; %bb.16:
	s_clause 0x1
	scratch_load_b128 v[8:11], off, off offset:360 th:TH_LOAD_LU
	scratch_load_b128 v[12:15], off, off offset:376 th:TH_LOAD_LU
	s_wait_loadcnt 0x1
	v_mul_f64_e32 v[0:1], v[10:11], v[60:61]
	s_wait_loadcnt 0x0
	v_mul_f64_e32 v[2:3], v[14:15], v[64:65]
	v_mul_f64_e32 v[4:5], v[10:11], v[62:63]
	v_mul_f64_e32 v[6:7], v[14:15], v[66:67]
	s_delay_alu instid0(VALU_DEP_4) | instskip(NEXT) | instid1(VALU_DEP_4)
	v_fma_f64 v[0:1], v[8:9], v[62:63], -v[0:1]
	v_fma_f64 v[2:3], v[12:13], v[66:67], -v[2:3]
	s_delay_alu instid0(VALU_DEP_4) | instskip(NEXT) | instid1(VALU_DEP_4)
	v_fma_f64 v[4:5], v[8:9], v[60:61], v[4:5]
	v_fma_f64 v[6:7], v[12:13], v[64:65], v[6:7]
	s_delay_alu instid0(VALU_DEP_4) | instskip(NEXT) | instid1(VALU_DEP_4)
	v_add_f64_e32 v[14:15], v[58:59], v[0:1]
	v_add_f64_e32 v[8:9], v[0:1], v[2:3]
	v_add_f64_e64 v[16:17], v[0:1], -v[2:3]
	s_delay_alu instid0(VALU_DEP_4)
	v_add_f64_e32 v[10:11], v[4:5], v[6:7]
	v_add_f64_e64 v[12:13], v[4:5], -v[6:7]
	v_add_f64_e32 v[4:5], v[56:57], v[4:5]
	v_add_f64_e32 v[2:3], v[14:15], v[2:3]
	v_fma_f64 v[8:9], v[8:9], -0.5, v[58:59]
	v_fma_f64 v[18:19], v[10:11], -0.5, v[56:57]
	s_delay_alu instid0(VALU_DEP_4) | instskip(NEXT) | instid1(VALU_DEP_3)
	v_add_f64_e32 v[0:1], v[4:5], v[6:7]
	v_fma_f64 v[6:7], v[12:13], s[2:3], v[8:9]
	v_fma_f64 v[10:11], v[12:13], s[8:9], v[8:9]
	scratch_load_b32 v12, off, off offset:332 th:TH_LOAD_LU ; 4-byte Folded Reload
	v_fma_f64 v[8:9], v[16:17], s[2:3], v[18:19]
	v_fma_f64 v[4:5], v[16:17], s[8:9], v[18:19]
	s_wait_loadcnt 0x0
	v_and_b32_e32 v12, 0xffff, v12
	s_delay_alu instid0(VALU_DEP_1)
	v_lshlrev_b32_e32 v12, 4, v12
	ds_store_b128 v12, v[0:3]
	ds_store_b128 v12, v[8:11] offset:192
	ds_store_b128 v12, v[4:7] offset:384
.LBB0_17:
	s_wait_alu 0xfffe
	s_or_b32 exec_lo, exec_lo, s10
	global_wb scope:SCOPE_SE
	s_wait_dscnt 0x0
	s_barrier_signal -1
	s_barrier_wait -1
	global_inv scope:SCOPE_SE
	ds_load_b128 v[0:3], v20 offset:4032
	ds_load_b128 v[4:7], v20 offset:8064
	;; [unrolled: 1-line block ×12, first 2 shown]
	s_mov_b32 s12, 0x37e14327
	s_mov_b32 s2, 0x36b3c0b5
	;; [unrolled: 1-line block ×9, first 2 shown]
	s_wait_dscnt 0xb
	v_mul_f64_e32 v[40:41], v[122:123], v[2:3]
	v_mul_f64_e32 v[42:43], v[122:123], v[0:1]
	s_wait_dscnt 0xa
	v_mul_f64_e32 v[44:45], v[126:127], v[6:7]
	v_mul_f64_e32 v[46:47], v[126:127], v[4:5]
	;; [unrolled: 3-line block ×9, first 2 shown]
	v_mul_f64_e32 v[88:89], v[162:163], v[38:39]
	v_mul_f64_e32 v[90:91], v[162:163], v[36:37]
	s_mov_b32 s14, 0x5476071b
	s_mov_b32 s22, 0xb247c609
	;; [unrolled: 1-line block ×7, first 2 shown]
	s_wait_alu 0xfffe
	s_mov_b32 s18, s14
	s_mov_b32 s20, s22
	;; [unrolled: 1-line block ×4, first 2 shown]
	v_fma_f64 v[0:1], v[120:121], v[0:1], v[40:41]
	v_fma_f64 v[2:3], v[120:121], v[2:3], -v[42:43]
	v_fma_f64 v[4:5], v[124:125], v[4:5], v[44:45]
	v_fma_f64 v[6:7], v[124:125], v[6:7], -v[46:47]
	;; [unrolled: 2-line block ×4, first 2 shown]
	s_wait_dscnt 0x1
	v_mul_f64_e32 v[40:41], v[158:159], v[62:63]
	v_mul_f64_e32 v[42:43], v[158:159], v[60:61]
	s_wait_dscnt 0x0
	v_mul_f64_e32 v[44:45], v[166:167], v[66:67]
	v_mul_f64_e32 v[46:47], v[166:167], v[64:65]
	v_fma_f64 v[16:17], v[136:137], v[16:17], v[68:69]
	v_fma_f64 v[18:19], v[136:137], v[18:19], -v[70:71]
	v_fma_f64 v[24:25], v[140:141], v[24:25], v[72:73]
	v_fma_f64 v[26:27], v[140:141], v[26:27], -v[74:75]
	v_fma_f64 v[28:29], v[144:145], v[28:29], v[76:77]
	v_fma_f64 v[30:31], v[144:145], v[30:31], -v[78:79]
	v_fma_f64 v[32:33], v[148:149], v[32:33], v[80:81]
	v_fma_f64 v[34:35], v[148:149], v[34:35], -v[82:83]
	v_fma_f64 v[48:49], v[152:153], v[56:57], v[84:85]
	v_fma_f64 v[50:51], v[152:153], v[58:59], -v[86:87]
	v_fma_f64 v[36:37], v[160:161], v[36:37], v[88:89]
	v_fma_f64 v[38:39], v[160:161], v[38:39], -v[90:91]
	v_add_f64_e32 v[52:53], v[0:1], v[8:9]
	v_add_f64_e32 v[54:55], v[2:3], v[10:11]
	;; [unrolled: 1-line block ×4, first 2 shown]
	v_fma_f64 v[40:41], v[156:157], v[60:61], v[40:41]
	v_fma_f64 v[42:43], v[156:157], v[62:63], -v[42:43]
	v_fma_f64 v[44:45], v[164:165], v[64:65], v[44:45]
	v_fma_f64 v[46:47], v[164:165], v[66:67], -v[46:47]
	v_add_f64_e64 v[12:13], v[4:5], -v[12:13]
	v_add_f64_e64 v[14:15], v[6:7], -v[14:15]
	v_add_f64_e64 v[8:9], v[0:1], -v[8:9]
	v_add_f64_e64 v[10:11], v[2:3], -v[10:11]
	v_add_f64_e32 v[60:61], v[16:17], v[28:29]
	v_add_f64_e32 v[62:63], v[18:19], v[30:31]
	;; [unrolled: 1-line block ×4, first 2 shown]
	v_add_f64_e64 v[24:25], v[24:25], -v[32:33]
	v_add_f64_e64 v[26:27], v[26:27], -v[34:35]
	v_add_f64_e32 v[68:69], v[48:49], v[36:37]
	v_add_f64_e32 v[70:71], v[50:51], v[38:39]
	v_add_f64_e64 v[36:37], v[36:37], -v[48:49]
	v_add_f64_e64 v[38:39], v[38:39], -v[50:51]
	;; [unrolled: 1-line block ×4, first 2 shown]
	ds_load_b128 v[0:3], v20
	ds_load_b128 v[4:7], v20 offset:2016
	global_wb scope:SCOPE_SE
	s_wait_dscnt 0x0
	s_barrier_signal -1
	s_barrier_wait -1
	global_inv scope:SCOPE_SE
	v_add_f64_e32 v[48:49], v[56:57], v[52:53]
	v_add_f64_e32 v[50:51], v[58:59], v[54:55]
	;; [unrolled: 1-line block ×4, first 2 shown]
	v_add_f64_e64 v[40:41], v[44:45], -v[40:41]
	v_add_f64_e64 v[42:43], v[46:47], -v[42:43]
	v_add_f64_e64 v[80:81], v[12:13], -v[8:9]
	v_add_f64_e64 v[82:83], v[14:15], -v[10:11]
	v_add_f64_e32 v[28:29], v[64:65], v[60:61]
	v_add_f64_e32 v[30:31], v[66:67], v[62:63]
	v_add_f64_e64 v[44:45], v[52:53], -v[68:69]
	v_add_f64_e64 v[46:47], v[54:55], -v[70:71]
	;; [unrolled: 1-line block ×10, first 2 shown]
	v_add_f64_e32 v[12:13], v[36:37], v[12:13]
	v_add_f64_e32 v[14:15], v[38:39], v[14:15]
	v_add_f64_e64 v[36:37], v[8:9], -v[36:37]
	v_add_f64_e64 v[38:39], v[10:11], -v[38:39]
	v_add_f64_e32 v[48:49], v[68:69], v[48:49]
	v_add_f64_e32 v[50:51], v[70:71], v[50:51]
	v_add_f64_e64 v[68:69], v[60:61], -v[32:33]
	v_add_f64_e64 v[70:71], v[62:63], -v[34:35]
	;; [unrolled: 1-line block ×4, first 2 shown]
	v_add_f64_e32 v[24:25], v[40:41], v[24:25]
	v_add_f64_e32 v[26:27], v[42:43], v[26:27]
	v_mul_f64_e32 v[92:93], s[8:9], v[80:81]
	v_mul_f64_e32 v[94:95], s[8:9], v[82:83]
	v_add_f64_e32 v[28:29], v[32:33], v[28:29]
	v_add_f64_e32 v[30:31], v[34:35], v[30:31]
	v_add_f64_e64 v[32:33], v[32:33], -v[64:65]
	v_add_f64_e64 v[34:35], v[34:35], -v[66:67]
	v_mul_f64_e32 v[44:45], s[12:13], v[44:45]
	v_mul_f64_e32 v[46:47], s[12:13], v[46:47]
	;; [unrolled: 1-line block ×6, first 2 shown]
	v_add_f64_e64 v[40:41], v[16:17], -v[40:41]
	v_add_f64_e64 v[42:43], v[18:19], -v[42:43]
	v_mul_f64_e32 v[96:97], s[8:9], v[88:89]
	v_mul_f64_e32 v[98:99], s[8:9], v[90:91]
	v_add_f64_e64 v[60:61], v[64:65], -v[60:61]
	v_add_f64_e64 v[62:63], v[66:67], -v[62:63]
	v_add_f64_e32 v[8:9], v[12:13], v[8:9]
	v_add_f64_e32 v[10:11], v[14:15], v[10:11]
	v_add_f64_e32 v[0:1], v[0:1], v[48:49]
	v_add_f64_e32 v[2:3], v[2:3], v[50:51]
	v_mul_f64_e32 v[68:69], s[12:13], v[68:69]
	v_mul_f64_e32 v[70:71], s[12:13], v[70:71]
	;; [unrolled: 1-line block ×4, first 2 shown]
	v_add_f64_e32 v[12:13], v[24:25], v[16:17]
	v_add_f64_e32 v[14:15], v[26:27], v[18:19]
	;; [unrolled: 1-line block ×4, first 2 shown]
	v_mul_f64_e32 v[64:65], s[2:3], v[32:33]
	v_mul_f64_e32 v[66:67], s[2:3], v[34:35]
	v_fma_f64 v[16:17], v[72:73], s[2:3], v[44:45]
	v_fma_f64 v[18:19], v[74:75], s[2:3], v[46:47]
	v_fma_f64 v[24:25], v[52:53], s[14:15], -v[56:57]
	v_fma_f64 v[26:27], v[54:55], s[14:15], -v[58:59]
	v_fma_f64 v[56:57], v[36:37], s[22:23], v[76:77]
	v_fma_f64 v[58:59], v[38:39], s[22:23], v[78:79]
	v_fma_f64 v[72:73], v[80:81], s[8:9], -v[76:77]
	v_fma_f64 v[74:75], v[82:83], s[8:9], -v[78:79]
	s_wait_alu 0xfffe
	v_fma_f64 v[36:37], v[36:37], s[20:21], -v[92:93]
	v_fma_f64 v[38:39], v[38:39], s[20:21], -v[94:95]
	v_fma_f64 v[44:45], v[52:53], s[18:19], -v[44:45]
	v_fma_f64 v[46:47], v[54:55], s[18:19], -v[46:47]
	v_fma_f64 v[48:49], v[48:49], s[10:11], v[0:1]
	v_fma_f64 v[50:51], v[50:51], s[10:11], v[2:3]
	;; [unrolled: 1-line block ×6, first 2 shown]
	v_fma_f64 v[76:77], v[88:89], s[8:9], -v[84:85]
	v_fma_f64 v[78:79], v[90:91], s[8:9], -v[86:87]
	;; [unrolled: 1-line block ×4, first 2 shown]
	v_fma_f64 v[28:29], v[28:29], s[10:11], v[4:5]
	v_fma_f64 v[30:31], v[30:31], s[10:11], v[6:7]
	v_fma_f64 v[68:69], v[60:61], s[18:19], -v[68:69]
	v_fma_f64 v[70:71], v[62:63], s[18:19], -v[70:71]
	;; [unrolled: 1-line block ×4, first 2 shown]
	v_fma_f64 v[56:57], v[8:9], s[24:25], v[56:57]
	v_fma_f64 v[58:59], v[10:11], s[24:25], v[58:59]
	;; [unrolled: 1-line block ×6, first 2 shown]
	v_add_f64_e32 v[72:73], v[16:17], v[48:49]
	v_add_f64_e32 v[74:75], v[18:19], v[50:51]
	;; [unrolled: 1-line block ×6, first 2 shown]
	v_fma_f64 v[48:49], v[12:13], s[24:25], v[52:53]
	v_fma_f64 v[50:51], v[14:15], s[24:25], v[54:55]
	;; [unrolled: 1-line block ×6, first 2 shown]
	v_add_f64_e32 v[76:77], v[32:33], v[28:29]
	v_add_f64_e32 v[78:79], v[34:35], v[30:31]
	;; [unrolled: 1-line block ×7, first 2 shown]
	v_add_f64_e64 v[10:11], v[74:75], -v[56:57]
	v_add_f64_e32 v[12:13], v[38:39], v[44:45]
	v_add_f64_e64 v[14:15], v[46:47], -v[36:37]
	v_add_f64_e64 v[16:17], v[24:25], -v[66:67]
	v_add_f64_e32 v[18:19], v[64:65], v[26:27]
	v_add_f64_e32 v[24:25], v[66:67], v[24:25]
	v_add_f64_e64 v[26:27], v[26:27], -v[64:65]
	v_add_f64_e64 v[28:29], v[44:45], -v[38:39]
	v_add_f64_e32 v[30:31], v[36:37], v[46:47]
	v_add_f64_e64 v[32:33], v[72:73], -v[58:59]
	v_add_f64_e32 v[34:35], v[56:57], v[74:75]
	v_add_f64_e32 v[36:37], v[50:51], v[76:77]
	v_add_f64_e64 v[38:39], v[78:79], -v[48:49]
	v_add_f64_e32 v[56:57], v[42:43], v[68:69]
	v_add_f64_e64 v[58:59], v[70:71], -v[40:41]
	v_add_f64_e64 v[60:61], v[80:81], -v[54:55]
	v_add_f64_e32 v[62:63], v[52:53], v[82:83]
	v_add_f64_e32 v[64:65], v[54:55], v[80:81]
	v_add_f64_e64 v[66:67], v[82:83], -v[52:53]
	v_add_f64_e64 v[68:69], v[68:69], -v[42:43]
	v_add_f64_e32 v[70:71], v[40:41], v[70:71]
	v_add_f64_e64 v[72:73], v[76:77], -v[50:51]
	v_add_f64_e32 v[74:75], v[48:49], v[78:79]
	ds_store_b128 v23, v[0:3]
	ds_store_b128 v23, v[8:11] offset:576
	ds_store_b128 v23, v[12:15] offset:1152
	ds_store_b128 v23, v[16:19] offset:1728
	ds_store_b128 v23, v[24:27] offset:2304
	ds_store_b128 v23, v[28:31] offset:2880
	ds_store_b128 v23, v[32:35] offset:3456
	ds_store_b128 v22, v[4:7]
	ds_store_b128 v22, v[36:39] offset:576
	ds_store_b128 v22, v[56:59] offset:1152
	;; [unrolled: 1-line block ×6, first 2 shown]
	global_wb scope:SCOPE_SE
	s_wait_dscnt 0x0
	s_barrier_signal -1
	s_barrier_wait -1
	global_inv scope:SCOPE_SE
	ds_load_b128 v[0:3], v20 offset:4032
	ds_load_b128 v[4:7], v20 offset:8064
	;; [unrolled: 1-line block ×12, first 2 shown]
	s_wait_dscnt 0xb
	v_mul_f64_e32 v[38:39], v[170:171], v[2:3]
	s_wait_dscnt 0xa
	v_mul_f64_e32 v[42:43], v[174:175], v[6:7]
	v_mul_f64_e32 v[40:41], v[170:171], v[0:1]
	;; [unrolled: 1-line block ×3, first 2 shown]
	s_wait_dscnt 0x9
	v_mul_f64_e32 v[46:47], v[178:179], v[10:11]
	s_wait_dscnt 0x8
	v_mul_f64_e32 v[50:51], v[182:183], v[14:15]
	;; [unrolled: 2-line block ×7, first 2 shown]
	v_mul_f64_e32 v[86:87], v[210:211], v[36:37]
	v_mul_f64_e32 v[48:49], v[178:179], v[8:9]
	;; [unrolled: 1-line block ×9, first 2 shown]
	v_fma_f64 v[0:1], v[168:169], v[0:1], v[38:39]
	v_fma_f64 v[4:5], v[172:173], v[4:5], v[42:43]
	s_wait_dscnt 0x1
	v_mul_f64_e32 v[38:39], v[206:207], v[62:63]
	s_wait_dscnt 0x0
	v_mul_f64_e32 v[42:43], v[214:215], v[66:67]
	v_fma_f64 v[2:3], v[168:169], v[2:3], -v[40:41]
	v_fma_f64 v[6:7], v[172:173], v[6:7], -v[44:45]
	v_fma_f64 v[8:9], v[176:177], v[8:9], v[46:47]
	v_fma_f64 v[12:13], v[180:181], v[12:13], v[50:51]
	v_mul_f64_e32 v[40:41], v[206:207], v[60:61]
	v_mul_f64_e32 v[44:45], v[214:215], v[64:65]
	v_fma_f64 v[16:17], v[184:185], v[16:17], v[54:55]
	v_fma_f64 v[22:23], v[188:189], v[22:23], v[70:71]
	;; [unrolled: 1-line block ×6, first 2 shown]
	v_fma_f64 v[10:11], v[176:177], v[10:11], -v[48:49]
	v_fma_f64 v[14:15], v[180:181], v[14:15], -v[52:53]
	;; [unrolled: 1-line block ×8, first 2 shown]
	v_fma_f64 v[38:39], v[204:205], v[60:61], v[38:39]
	v_fma_f64 v[42:43], v[212:213], v[64:65], v[42:43]
	v_add_f64_e32 v[50:51], v[0:1], v[8:9]
	v_add_f64_e32 v[54:55], v[4:5], v[12:13]
	v_fma_f64 v[40:41], v[204:205], v[62:63], -v[40:41]
	v_fma_f64 v[44:45], v[212:213], v[66:67], -v[44:45]
	v_add_f64_e64 v[12:13], v[4:5], -v[12:13]
	v_add_f64_e64 v[8:9], v[0:1], -v[8:9]
	v_add_f64_e32 v[58:59], v[16:17], v[26:27]
	v_add_f64_e32 v[62:63], v[22:23], v[30:31]
	v_add_f64_e64 v[22:23], v[22:23], -v[30:31]
	v_add_f64_e32 v[66:67], v[46:47], v[34:35]
	v_add_f64_e32 v[52:53], v[2:3], v[10:11]
	;; [unrolled: 1-line block ×3, first 2 shown]
	v_add_f64_e64 v[34:35], v[34:35], -v[46:47]
	v_add_f64_e64 v[16:17], v[16:17], -v[26:27]
	v_add_f64_e32 v[60:61], v[18:19], v[28:29]
	v_add_f64_e32 v[64:65], v[24:25], v[32:33]
	v_add_f64_e64 v[14:15], v[6:7], -v[14:15]
	v_add_f64_e32 v[68:69], v[48:49], v[36:37]
	v_add_f64_e64 v[10:11], v[2:3], -v[10:11]
	v_add_f64_e64 v[18:19], v[18:19], -v[28:29]
	;; [unrolled: 1-line block ×4, first 2 shown]
	v_add_f64_e32 v[4:5], v[38:39], v[42:43]
	v_add_f64_e64 v[30:31], v[42:43], -v[38:39]
	v_add_f64_e32 v[0:1], v[54:55], v[50:51]
	v_add_f64_e32 v[6:7], v[40:41], v[44:45]
	v_add_f64_e64 v[32:33], v[44:45], -v[40:41]
	v_add_f64_e64 v[70:71], v[12:13], -v[8:9]
	v_add_f64_e32 v[26:27], v[62:63], v[58:59]
	v_add_f64_e64 v[38:39], v[50:51], -v[66:67]
	v_add_f64_e64 v[42:43], v[66:67], -v[54:55]
	v_add_f64_e32 v[2:3], v[56:57], v[52:53]
	v_add_f64_e64 v[46:47], v[34:35], -v[12:13]
	v_add_f64_e64 v[82:83], v[22:23], -v[16:17]
	v_add_f64_e64 v[50:51], v[54:55], -v[50:51]
	v_add_f64_e32 v[28:29], v[64:65], v[60:61]
	v_add_f64_e32 v[12:13], v[34:35], v[12:13]
	v_add_f64_e64 v[40:41], v[52:53], -v[68:69]
	v_add_f64_e64 v[44:45], v[68:69], -v[56:57]
	;; [unrolled: 1-line block ×7, first 2 shown]
	v_add_f64_e32 v[14:15], v[36:37], v[14:15]
	v_add_f64_e64 v[36:37], v[10:11], -v[36:37]
	v_add_f64_e64 v[74:75], v[58:59], -v[4:5]
	;; [unrolled: 1-line block ×4, first 2 shown]
	v_add_f64_e32 v[22:23], v[30:31], v[22:23]
	v_add_f64_e64 v[58:59], v[62:63], -v[58:59]
	v_add_f64_e32 v[66:67], v[66:67], v[0:1]
	v_add_f64_e64 v[76:77], v[60:61], -v[6:7]
	v_add_f64_e64 v[88:89], v[6:7], -v[64:65]
	;; [unrolled: 1-line block ×4, first 2 shown]
	v_add_f64_e32 v[26:27], v[4:5], v[26:27]
	v_add_f64_e32 v[24:25], v[32:33], v[24:25]
	v_mul_f64_e32 v[38:39], s[12:13], v[38:39]
	v_mul_f64_e32 v[54:55], s[2:3], v[42:43]
	v_add_f64_e32 v[68:69], v[68:69], v[2:3]
	v_mul_f64_e32 v[46:47], s[16:17], v[46:47]
	v_mul_f64_e32 v[90:91], s[8:9], v[70:71]
	v_add_f64_e64 v[32:33], v[18:19], -v[32:33]
	v_add_f64_e32 v[28:29], v[6:7], v[28:29]
	ds_load_b128 v[0:3], v20
	ds_load_b128 v[4:7], v20 offset:2016
	v_add_f64_e32 v[8:9], v[12:13], v[8:9]
	v_mul_f64_e32 v[40:41], s[12:13], v[40:41]
	v_mul_f64_e32 v[56:57], s[2:3], v[44:45]
	;; [unrolled: 1-line block ×6, first 2 shown]
	v_add_f64_e64 v[60:61], v[64:65], -v[60:61]
	v_add_f64_e32 v[10:11], v[14:15], v[10:11]
	v_mul_f64_e32 v[74:75], s[12:13], v[74:75]
	v_mul_f64_e32 v[62:63], s[2:3], v[86:87]
	;; [unrolled: 1-line block ×3, first 2 shown]
	v_add_f64_e32 v[12:13], v[22:23], v[16:17]
	s_wait_dscnt 0x1
	v_add_f64_e32 v[0:1], v[0:1], v[66:67]
	v_mul_f64_e32 v[76:77], s[12:13], v[76:77]
	v_mul_f64_e32 v[64:65], s[2:3], v[88:89]
	;; [unrolled: 1-line block ×3, first 2 shown]
	s_wait_dscnt 0x0
	v_add_f64_e32 v[4:5], v[4:5], v[26:27]
	v_add_f64_e32 v[14:15], v[24:25], v[18:19]
	v_fma_f64 v[16:17], v[42:43], s[2:3], v[38:39]
	v_fma_f64 v[22:23], v[50:51], s[14:15], -v[54:55]
	v_fma_f64 v[38:39], v[50:51], s[18:19], -v[38:39]
	v_add_f64_e32 v[2:3], v[2:3], v[68:69]
	v_fma_f64 v[42:43], v[34:35], s[22:23], v[46:47]
	v_fma_f64 v[46:47], v[70:71], s[8:9], -v[46:47]
	v_add_f64_e32 v[6:7], v[6:7], v[28:29]
	v_fma_f64 v[34:35], v[34:35], s[20:21], -v[90:91]
	v_fma_f64 v[18:19], v[44:45], s[2:3], v[40:41]
	v_fma_f64 v[24:25], v[52:53], s[14:15], -v[56:57]
	v_fma_f64 v[40:41], v[52:53], s[18:19], -v[40:41]
	v_fma_f64 v[44:45], v[36:37], s[22:23], v[48:49]
	v_fma_f64 v[48:49], v[72:73], s[8:9], -v[48:49]
	;; [unrolled: 3-line block ×3, first 2 shown]
	v_fma_f64 v[58:59], v[58:59], s[14:15], -v[62:63]
	scratch_load_b64 v[62:63], off, off offset:192 th:TH_LOAD_LU ; 8-byte Folded Reload
	v_fma_f64 v[70:71], v[82:83], s[8:9], -v[78:79]
	v_fma_f64 v[54:55], v[66:67], s[10:11], v[0:1]
	v_fma_f64 v[52:53], v[88:89], s[2:3], v[76:77]
	;; [unrolled: 1-line block ×3, first 2 shown]
	v_fma_f64 v[30:31], v[30:31], s[20:21], -v[94:95]
	v_fma_f64 v[72:73], v[84:85], s[8:9], -v[80:81]
	v_fma_f64 v[26:27], v[26:27], s[10:11], v[4:5]
	v_fma_f64 v[76:77], v[60:61], s[18:19], -v[76:77]
	v_fma_f64 v[60:61], v[60:61], s[14:15], -v[64:65]
	v_mad_co_u64_u32 v[86:87], null, s4, v21, 0
	v_fma_f64 v[56:57], v[68:69], s[10:11], v[2:3]
	v_fma_f64 v[68:69], v[32:33], s[22:23], v[80:81]
	v_fma_f64 v[32:33], v[32:33], s[20:21], -v[96:97]
	v_fma_f64 v[28:29], v[28:29], s[10:11], v[6:7]
	v_fma_f64 v[42:43], v[8:9], s[24:25], v[42:43]
	;; [unrolled: 1-line block ×4, first 2 shown]
	s_mul_u64 s[2:3], s[4:5], 0x3720
	v_fma_f64 v[44:45], v[10:11], s[24:25], v[44:45]
	v_fma_f64 v[48:49], v[10:11], s[24:25], v[48:49]
	;; [unrolled: 1-line block ×3, first 2 shown]
	v_add_f64_e32 v[38:39], v[38:39], v[54:55]
	v_add_f64_e32 v[22:23], v[22:23], v[54:55]
	;; [unrolled: 1-line block ×8, first 2 shown]
	v_fma_f64 v[80:81], v[14:15], s[24:25], v[68:69]
	v_add_f64_e32 v[52:53], v[52:53], v[28:29]
	v_fma_f64 v[68:69], v[14:15], s[24:25], v[72:73]
	v_fma_f64 v[72:73], v[14:15], s[24:25], v[32:33]
	v_add_f64_e32 v[76:77], v[76:77], v[28:29]
	v_add_f64_e32 v[84:85], v[60:61], v[28:29]
	v_add_f64_e64 v[14:15], v[40:41], -v[34:35]
	v_add_f64_e32 v[18:19], v[46:47], v[24:25]
	v_add_f64_e32 v[27:28], v[34:35], v[40:41]
	;; [unrolled: 1-line block ×3, first 2 shown]
	v_add_f64_e64 v[60:61], v[82:83], -v[68:69]
	v_add_f64_e32 v[56:57], v[72:73], v[74:75]
	s_wait_loadcnt 0x0
	v_mov_b32_e32 v88, v62
	v_add_f64_e32 v[62:63], v[16:17], v[54:55]
	v_fma_f64 v[54:55], v[12:13], s[24:25], v[66:67]
	v_fma_f64 v[66:67], v[12:13], s[24:25], v[70:71]
	;; [unrolled: 1-line block ×3, first 2 shown]
	v_mad_co_u64_u32 v[78:79], null, s6, v88, 0
	v_add_f64_e32 v[12:13], v[36:37], v[38:39]
	v_add_f64_e64 v[16:17], v[22:23], -v[48:49]
	v_add_f64_e32 v[31:32], v[42:43], v[64:65]
	s_delay_alu instid0(VALU_DEP_4) | instskip(NEXT) | instid1(VALU_DEP_1)
	v_mov_b32_e32 v8, v79
	v_mad_co_u64_u32 v[8:9], null, s7, v88, v[8:9]
	v_mov_b32_e32 v9, v87
	s_delay_alu instid0(VALU_DEP_1) | instskip(NEXT) | instid1(VALU_DEP_3)
	v_mad_co_u64_u32 v[87:88], null, s5, v21, v[9:10]
	v_mov_b32_e32 v79, v8
	v_add_f64_e64 v[10:11], v[64:65], -v[42:43]
	v_add_f64_e32 v[21:22], v[48:49], v[22:23]
	v_add_f64_e64 v[23:24], v[24:25], -v[46:47]
	v_add_f64_e64 v[25:26], v[38:39], -v[36:37]
	v_add_f64_e32 v[64:65], v[68:69], v[82:83]
	v_add_f64_e64 v[68:69], v[74:75], -v[72:73]
	v_add_f64_e64 v[72:73], v[50:51], -v[80:81]
	v_lshlrev_b64_e32 v[37:38], 4, v[78:79]
	v_lshlrev_b64_e32 v[39:40], 4, v[86:87]
	v_add_f64_e32 v[8:9], v[44:45], v[62:63]
	v_add_f64_e64 v[35:36], v[52:53], -v[54:55]
	v_add_f64_e64 v[29:30], v[62:63], -v[44:45]
	;; [unrolled: 1-line block ×3, first 2 shown]
	v_add_f64_e32 v[62:63], v[66:67], v[84:85]
	v_add_f64_e64 v[66:67], v[84:85], -v[66:67]
	v_add_f64_e32 v[70:71], v[70:71], v[76:77]
	v_add_f64_e32 v[74:75], v[54:55], v[52:53]
	ds_store_b128 v20, v[0:3]
	ds_store_b128 v20, v[4:7] offset:2016
	ds_store_b128 v20, v[8:11] offset:4032
	;; [unrolled: 1-line block ×13, first 2 shown]
	global_wb scope:SCOPE_SE
	s_wait_dscnt 0x0
	s_barrier_signal -1
	s_barrier_wait -1
	global_inv scope:SCOPE_SE
	ds_load_b128 v[0:3], v20
	ds_load_b128 v[4:7], v20 offset:14112
	ds_load_b128 v[8:11], v20 offset:2016
	;; [unrolled: 1-line block ×13, first 2 shown]
	s_clause 0x1
	scratch_load_b128 v[132:135], off, off offset:16 th:TH_LOAD_LU
	scratch_load_b128 v[128:131], off, off th:TH_LOAD_LU
	v_add_co_u32 v37, vcc_lo, s0, v37
	s_wait_alu 0xfffd
	v_add_co_ci_u32_e32 v38, vcc_lo, s1, v38, vcc_lo
	scratch_load_b128 v[152:155], off, off offset:144 th:TH_LOAD_LU ; 16-byte Folded Reload
	v_add_co_u32 v76, vcc_lo, v37, v39
	s_wait_alu 0xfffd
	v_add_co_ci_u32_e32 v77, vcc_lo, v38, v40, vcc_lo
	s_movk_i32 s0, 0xd0c0
	s_wait_alu 0xfffe
	v_add_co_u32 v78, vcc_lo, v76, s2
	s_mov_b32 s1, -1
	s_wait_alu 0xfffd
	v_add_co_ci_u32_e32 v79, vcc_lo, s3, v77, vcc_lo
	s_wait_alu 0xfffe
	s_mul_u64 s[0:1], s[4:5], s[0:1]
	s_mov_b32 s4, 0x5bb804a5
	s_wait_alu 0xfffe
	v_add_co_u32 v80, vcc_lo, v78, s0
	s_wait_alu 0xfffd
	v_add_co_ci_u32_e32 v81, vcc_lo, s1, v79, vcc_lo
	s_mov_b32 s5, 0x3f429372
	s_delay_alu instid0(VALU_DEP_2) | instskip(SKIP_1) | instid1(VALU_DEP_2)
	v_add_co_u32 v82, vcc_lo, v80, s2
	s_wait_alu 0xfffd
	v_add_co_ci_u32_e32 v83, vcc_lo, s3, v81, vcc_lo
	scratch_load_b128 v[142:145], off, off offset:80 th:TH_LOAD_LU ; 16-byte Folded Reload
	v_add_co_u32 v122, vcc_lo, v82, s0
	s_wait_alu 0xfffd
	v_add_co_ci_u32_e32 v123, vcc_lo, s1, v83, vcc_lo
	s_delay_alu instid0(VALU_DEP_2) | instskip(SKIP_1) | instid1(VALU_DEP_2)
	v_add_co_u32 v124, vcc_lo, v122, s2
	s_wait_alu 0xfffd
	v_add_co_ci_u32_e32 v125, vcc_lo, s3, v123, vcc_lo
	s_delay_alu instid0(VALU_DEP_2) | instskip(SKIP_1) | instid1(VALU_DEP_2)
	v_add_co_u32 v126, vcc_lo, v124, s0
	s_wait_alu 0xfffd
	v_add_co_ci_u32_e32 v127, vcc_lo, s1, v125, vcc_lo
	s_wait_loadcnt_dscnt 0x30d
	v_mul_f64_e32 v[37:38], v[134:135], v[2:3]
	v_mul_f64_e32 v[39:40], v[134:135], v[0:1]
	scratch_load_b128 v[134:137], off, off offset:32 th:TH_LOAD_LU ; 16-byte Folded Reload
	s_wait_loadcnt_dscnt 0x30c
	v_mul_f64_e32 v[41:42], v[130:131], v[6:7]
	v_mul_f64_e32 v[43:44], v[130:131], v[4:5]
	s_wait_loadcnt_dscnt 0x10a
	v_mul_f64_e32 v[53:54], v[144:145], v[14:15]
	v_mul_f64_e32 v[84:85], v[144:145], v[12:13]
	scratch_load_b128 v[144:147], off, off offset:96 th:TH_LOAD_LU ; 16-byte Folded Reload
	v_fma_f64 v[0:1], v[132:133], v[0:1], v[37:38]
	v_fma_f64 v[2:3], v[132:133], v[2:3], -v[39:40]
	v_fma_f64 v[4:5], v[128:129], v[4:5], v[41:42]
	v_fma_f64 v[6:7], v[128:129], v[6:7], -v[43:44]
	;; [unrolled: 2-line block ×3, first 2 shown]
	s_wait_alu 0xfffe
	v_mul_f64_e32 v[0:1], s[4:5], v[0:1]
	v_mul_f64_e32 v[2:3], s[4:5], v[2:3]
	;; [unrolled: 1-line block ×4, first 2 shown]
	s_wait_loadcnt 0x1
	v_mul_f64_e32 v[45:46], v[136:137], v[10:11]
	v_mul_f64_e32 v[47:48], v[136:137], v[8:9]
	scratch_load_b128 v[136:139], off, off offset:48 th:TH_LOAD_LU ; 16-byte Folded Reload
	s_wait_loadcnt_dscnt 0x107
	v_mul_f64_e32 v[90:91], v[146:147], v[27:28]
	v_mul_f64_e32 v[92:93], v[146:147], v[25:26]
	scratch_load_b128 v[146:149], off, off offset:112 th:TH_LOAD_LU ; 16-byte Folded Reload
	v_fma_f64 v[8:9], v[134:135], v[8:9], v[45:46]
	v_fma_f64 v[10:11], v[134:135], v[10:11], -v[47:48]
	s_delay_alu instid0(VALU_DEP_2) | instskip(NEXT) | instid1(VALU_DEP_2)
	v_mul_f64_e32 v[8:9], s[4:5], v[8:9]
	v_mul_f64_e32 v[10:11], s[4:5], v[10:11]
	s_wait_loadcnt 0x1
	v_mul_f64_e32 v[49:50], v[138:139], v[18:19]
	v_mul_f64_e32 v[51:52], v[138:139], v[16:17]
	scratch_load_b128 v[138:141], off, off offset:64 th:TH_LOAD_LU ; 16-byte Folded Reload
	s_wait_loadcnt_dscnt 0x106
	v_mul_f64_e32 v[94:95], v[148:149], v[31:32]
	v_mul_f64_e32 v[96:97], v[148:149], v[29:30]
	scratch_load_b128 v[148:151], off, off offset:128 th:TH_LOAD_LU ; 16-byte Folded Reload
	s_wait_dscnt 0x4
	v_mul_f64_e32 v[98:99], v[154:155], v[58:59]
	v_mul_f64_e32 v[100:101], v[154:155], v[56:57]
	scratch_load_b128 v[154:157], off, off offset:160 th:TH_LOAD_LU ; 16-byte Folded Reload
	v_fma_f64 v[16:17], v[136:137], v[16:17], v[49:50]
	v_fma_f64 v[18:19], v[136:137], v[18:19], -v[51:52]
	v_fma_f64 v[41:42], v[152:153], v[56:57], v[98:99]
	v_fma_f64 v[43:44], v[152:153], v[58:59], -v[100:101]
	s_delay_alu instid0(VALU_DEP_4) | instskip(NEXT) | instid1(VALU_DEP_4)
	v_mul_f64_e32 v[12:13], s[4:5], v[16:17]
	v_mul_f64_e32 v[14:15], s[4:5], v[18:19]
	;; [unrolled: 1-line block ×4, first 2 shown]
	s_wait_loadcnt 0x2
	v_mul_f64_e32 v[86:87], v[140:141], v[23:24]
	v_mul_f64_e32 v[88:89], v[140:141], v[21:22]
	s_wait_loadcnt 0x1
	v_mul_f64_e32 v[102:103], v[150:151], v[35:36]
	v_mul_f64_e32 v[104:105], v[150:151], v[33:34]
	s_wait_loadcnt_dscnt 0x3
	v_mul_f64_e32 v[106:107], v[156:157], v[62:63]
	v_mul_f64_e32 v[108:109], v[156:157], v[60:61]
	scratch_load_b128 v[156:159], off, off offset:176 th:TH_LOAD_LU ; 16-byte Folded Reload
	v_fma_f64 v[20:21], v[138:139], v[21:22], v[86:87]
	v_fma_f64 v[22:23], v[138:139], v[23:24], -v[88:89]
	v_fma_f64 v[24:25], v[144:145], v[25:26], v[90:91]
	v_fma_f64 v[26:27], v[144:145], v[27:28], -v[92:93]
	;; [unrolled: 2-line block ×4, first 2 shown]
	v_mul_f64_e32 v[32:33], s[4:5], v[41:42]
	v_fma_f64 v[49:50], v[154:155], v[60:61], v[106:107]
	v_fma_f64 v[51:52], v[154:155], v[62:63], -v[108:109]
	v_mul_f64_e32 v[34:35], s[4:5], v[43:44]
	v_mul_f64_e32 v[20:21], s[4:5], v[20:21]
	;; [unrolled: 1-line block ×11, first 2 shown]
	s_wait_loadcnt_dscnt 0x1
	v_mul_f64_e32 v[110:111], v[158:159], v[70:71]
	v_mul_f64_e32 v[112:113], v[158:159], v[68:69]
	scratch_load_b128 v[158:161], off, off offset:200 th:TH_LOAD_LU ; 16-byte Folded Reload
	v_fma_f64 v[53:54], v[156:157], v[68:69], v[110:111]
	v_fma_f64 v[55:56], v[156:157], v[70:71], -v[112:113]
	s_delay_alu instid0(VALU_DEP_2) | instskip(NEXT) | instid1(VALU_DEP_2)
	v_mul_f64_e32 v[44:45], s[4:5], v[53:54]
	v_mul_f64_e32 v[46:47], s[4:5], v[55:56]
	s_wait_loadcnt 0x0
	v_mul_f64_e32 v[114:115], v[160:161], v[66:67]
	v_mul_f64_e32 v[116:117], v[160:161], v[64:65]
	scratch_load_b128 v[160:163], off, off offset:216 th:TH_LOAD_LU ; 16-byte Folded Reload
	v_fma_f64 v[57:58], v[158:159], v[64:65], v[114:115]
	v_fma_f64 v[59:60], v[158:159], v[66:67], -v[116:117]
	v_add_co_u32 v65, vcc_lo, v126, s2
	s_wait_alu 0xfffd
	v_add_co_ci_u32_e32 v66, vcc_lo, s3, v127, vcc_lo
	s_delay_alu instid0(VALU_DEP_2) | instskip(SKIP_1) | instid1(VALU_DEP_2)
	v_add_co_u32 v67, vcc_lo, v65, s0
	s_wait_alu 0xfffd
	v_add_co_ci_u32_e32 v68, vcc_lo, s1, v66, vcc_lo
	s_delay_alu instid0(VALU_DEP_2)
	v_add_co_u32 v56, vcc_lo, v67, s2
	v_mul_f64_e32 v[48:49], s[4:5], v[57:58]
	v_mul_f64_e32 v[50:51], s[4:5], v[59:60]
	s_wait_alu 0xfffd
	v_add_co_ci_u32_e32 v57, vcc_lo, s3, v68, vcc_lo
	v_add_co_u32 v58, vcc_lo, v56, s0
	s_wait_alu 0xfffd
	s_delay_alu instid0(VALU_DEP_2) | instskip(NEXT) | instid1(VALU_DEP_2)
	v_add_co_ci_u32_e32 v59, vcc_lo, s1, v57, vcc_lo
	v_add_co_u32 v60, vcc_lo, v58, s2
	s_wait_loadcnt_dscnt 0x0
	v_mul_f64_e32 v[118:119], v[162:163], v[74:75]
	v_mul_f64_e32 v[120:121], v[162:163], v[72:73]
	s_delay_alu instid0(VALU_DEP_2) | instskip(NEXT) | instid1(VALU_DEP_2)
	v_fma_f64 v[61:62], v[160:161], v[72:73], v[118:119]
	v_fma_f64 v[63:64], v[160:161], v[74:75], -v[120:121]
	s_delay_alu instid0(VALU_DEP_2) | instskip(NEXT) | instid1(VALU_DEP_2)
	v_mul_f64_e32 v[52:53], s[4:5], v[61:62]
	v_mul_f64_e32 v[54:55], s[4:5], v[63:64]
	s_wait_alu 0xfffd
	v_add_co_ci_u32_e32 v61, vcc_lo, s3, v59, vcc_lo
	v_add_co_u32 v62, vcc_lo, v60, s0
	s_wait_alu 0xfffd
	s_delay_alu instid0(VALU_DEP_2) | instskip(NEXT) | instid1(VALU_DEP_2)
	v_add_co_ci_u32_e32 v63, vcc_lo, s1, v61, vcc_lo
	v_add_co_u32 v69, vcc_lo, v62, s2
	s_wait_alu 0xfffd
	s_delay_alu instid0(VALU_DEP_2)
	v_add_co_ci_u32_e32 v70, vcc_lo, s3, v63, vcc_lo
	s_clause 0x4
	global_store_b128 v[76:77], v[0:3], off
	global_store_b128 v[78:79], v[4:7], off
	;; [unrolled: 1-line block ×14, first 2 shown]
.LBB0_18:
	s_nop 0
	s_sendmsg sendmsg(MSG_DEALLOC_VGPRS)
	s_endpgm
	.section	.rodata,"a",@progbits
	.p2align	6, 0x0
	.amdhsa_kernel bluestein_single_back_len1764_dim1_dp_op_CI_CI
		.amdhsa_group_segment_fixed_size 28224
		.amdhsa_private_segment_fixed_size 400
		.amdhsa_kernarg_size 104
		.amdhsa_user_sgpr_count 2
		.amdhsa_user_sgpr_dispatch_ptr 0
		.amdhsa_user_sgpr_queue_ptr 0
		.amdhsa_user_sgpr_kernarg_segment_ptr 1
		.amdhsa_user_sgpr_dispatch_id 0
		.amdhsa_user_sgpr_private_segment_size 0
		.amdhsa_wavefront_size32 1
		.amdhsa_uses_dynamic_stack 0
		.amdhsa_enable_private_segment 1
		.amdhsa_system_sgpr_workgroup_id_x 1
		.amdhsa_system_sgpr_workgroup_id_y 0
		.amdhsa_system_sgpr_workgroup_id_z 0
		.amdhsa_system_sgpr_workgroup_info 0
		.amdhsa_system_vgpr_workitem_id 0
		.amdhsa_next_free_vgpr 256
		.amdhsa_next_free_sgpr 30
		.amdhsa_reserve_vcc 1
		.amdhsa_float_round_mode_32 0
		.amdhsa_float_round_mode_16_64 0
		.amdhsa_float_denorm_mode_32 3
		.amdhsa_float_denorm_mode_16_64 3
		.amdhsa_fp16_overflow 0
		.amdhsa_workgroup_processor_mode 1
		.amdhsa_memory_ordered 1
		.amdhsa_forward_progress 0
		.amdhsa_round_robin_scheduling 0
		.amdhsa_exception_fp_ieee_invalid_op 0
		.amdhsa_exception_fp_denorm_src 0
		.amdhsa_exception_fp_ieee_div_zero 0
		.amdhsa_exception_fp_ieee_overflow 0
		.amdhsa_exception_fp_ieee_underflow 0
		.amdhsa_exception_fp_ieee_inexact 0
		.amdhsa_exception_int_div_zero 0
	.end_amdhsa_kernel
	.text
.Lfunc_end0:
	.size	bluestein_single_back_len1764_dim1_dp_op_CI_CI, .Lfunc_end0-bluestein_single_back_len1764_dim1_dp_op_CI_CI
                                        ; -- End function
	.section	.AMDGPU.csdata,"",@progbits
; Kernel info:
; codeLenInByte = 20428
; NumSgprs: 32
; NumVgprs: 256
; ScratchSize: 400
; MemoryBound: 0
; FloatMode: 240
; IeeeMode: 1
; LDSByteSize: 28224 bytes/workgroup (compile time only)
; SGPRBlocks: 3
; VGPRBlocks: 31
; NumSGPRsForWavesPerEU: 32
; NumVGPRsForWavesPerEU: 256
; Occupancy: 4
; WaveLimiterHint : 1
; COMPUTE_PGM_RSRC2:SCRATCH_EN: 1
; COMPUTE_PGM_RSRC2:USER_SGPR: 2
; COMPUTE_PGM_RSRC2:TRAP_HANDLER: 0
; COMPUTE_PGM_RSRC2:TGID_X_EN: 1
; COMPUTE_PGM_RSRC2:TGID_Y_EN: 0
; COMPUTE_PGM_RSRC2:TGID_Z_EN: 0
; COMPUTE_PGM_RSRC2:TIDIG_COMP_CNT: 0
	.text
	.p2alignl 7, 3214868480
	.fill 96, 4, 3214868480
	.type	__hip_cuid_e77c5eeac34fcb0e,@object ; @__hip_cuid_e77c5eeac34fcb0e
	.section	.bss,"aw",@nobits
	.globl	__hip_cuid_e77c5eeac34fcb0e
__hip_cuid_e77c5eeac34fcb0e:
	.byte	0                               ; 0x0
	.size	__hip_cuid_e77c5eeac34fcb0e, 1

	.ident	"AMD clang version 19.0.0git (https://github.com/RadeonOpenCompute/llvm-project roc-6.4.0 25133 c7fe45cf4b819c5991fe208aaa96edf142730f1d)"
	.section	".note.GNU-stack","",@progbits
	.addrsig
	.addrsig_sym __hip_cuid_e77c5eeac34fcb0e
	.amdgpu_metadata
---
amdhsa.kernels:
  - .args:
      - .actual_access:  read_only
        .address_space:  global
        .offset:         0
        .size:           8
        .value_kind:     global_buffer
      - .actual_access:  read_only
        .address_space:  global
        .offset:         8
        .size:           8
        .value_kind:     global_buffer
      - .actual_access:  read_only
        .address_space:  global
        .offset:         16
        .size:           8
        .value_kind:     global_buffer
      - .actual_access:  read_only
        .address_space:  global
        .offset:         24
        .size:           8
        .value_kind:     global_buffer
      - .actual_access:  read_only
        .address_space:  global
        .offset:         32
        .size:           8
        .value_kind:     global_buffer
      - .offset:         40
        .size:           8
        .value_kind:     by_value
      - .address_space:  global
        .offset:         48
        .size:           8
        .value_kind:     global_buffer
      - .address_space:  global
        .offset:         56
        .size:           8
        .value_kind:     global_buffer
      - .address_space:  global
        .offset:         64
        .size:           8
        .value_kind:     global_buffer
      - .address_space:  global
        .offset:         72
        .size:           8
        .value_kind:     global_buffer
      - .offset:         80
        .size:           4
        .value_kind:     by_value
      - .address_space:  global
        .offset:         88
        .size:           8
        .value_kind:     global_buffer
      - .address_space:  global
        .offset:         96
        .size:           8
        .value_kind:     global_buffer
    .group_segment_fixed_size: 28224
    .kernarg_segment_align: 8
    .kernarg_segment_size: 104
    .language:       OpenCL C
    .language_version:
      - 2
      - 0
    .max_flat_workgroup_size: 126
    .name:           bluestein_single_back_len1764_dim1_dp_op_CI_CI
    .private_segment_fixed_size: 400
    .sgpr_count:     32
    .sgpr_spill_count: 0
    .symbol:         bluestein_single_back_len1764_dim1_dp_op_CI_CI.kd
    .uniform_work_group_size: 1
    .uses_dynamic_stack: false
    .vgpr_count:     256
    .vgpr_spill_count: 99
    .wavefront_size: 32
    .workgroup_processor_mode: 1
amdhsa.target:   amdgcn-amd-amdhsa--gfx1201
amdhsa.version:
  - 1
  - 2
...

	.end_amdgpu_metadata
